;; amdgpu-corpus repo=ROCm/rocFFT kind=compiled arch=gfx1030 opt=O3
	.text
	.amdgcn_target "amdgcn-amd-amdhsa--gfx1030"
	.amdhsa_code_object_version 6
	.protected	bluestein_single_fwd_len156_dim1_dp_op_CI_CI ; -- Begin function bluestein_single_fwd_len156_dim1_dp_op_CI_CI
	.globl	bluestein_single_fwd_len156_dim1_dp_op_CI_CI
	.p2align	8
	.type	bluestein_single_fwd_len156_dim1_dp_op_CI_CI,@function
bluestein_single_fwd_len156_dim1_dp_op_CI_CI: ; @bluestein_single_fwd_len156_dim1_dp_op_CI_CI
; %bb.0:
	s_load_dwordx4 s[8:11], s[4:5], 0x28
	v_mul_u32_u24_e32 v1, 0x13b2, v0
	s_mov_b64 s[50:51], s[2:3]
	s_mov_b64 s[48:49], s[0:1]
	s_add_u32 s48, s48, s7
	v_lshrrev_b32_e32 v1, 16, v1
	s_addc_u32 s49, s49, 0
	v_mad_u64_u32 v[152:153], null, s6, 9, v[1:2]
	v_mov_b32_e32 v153, 0
                                        ; kill: def $vgpr2 killed $sgpr0 killed $exec
	s_mov_b32 s0, exec_lo
	s_waitcnt lgkmcnt(0)
	v_cmpx_gt_u64_e64 s[8:9], v[152:153]
	s_cbranch_execz .LBB0_10
; %bb.1:
	s_load_dwordx4 s[0:3], s[4:5], 0x18
	v_mul_lo_u16 v1, v1, 13
	s_waitcnt lgkmcnt(0)
	s_load_dwordx4 s[16:19], s[0:1], 0x0
	s_load_dwordx4 s[12:15], s[4:5], 0x0
	v_sub_nc_u16 v104, v0, v1
	v_and_b32_e32 v28, 0xffff, v104
	v_and_b32_e32 v2, 0xff, v104
	v_lshlrev_b32_e32 v84, 4, v28
	v_add_co_u32 v3, null, v28, 13
	v_add_co_u32 v4, null, v28, 26
	v_mul_lo_u16 v2, 0xab, v2
	v_add_nc_u32_e32 v5, 39, v28
	v_mul_u32_u24_e32 v6, 3, v3
	s_waitcnt lgkmcnt(0)
	v_mad_u64_u32 v[32:33], null, s18, v152, 0
	v_mad_u64_u32 v[34:35], null, s16, v28, 0
	v_add_co_u32 v0, s0, s12, v84
	v_add_co_ci_u32_e64 v1, null, s13, 0, s0
	v_mov_b32_e32 v8, v33
	v_add_co_u32 v44, vcc_lo, 0x800, v0
	v_mov_b32_e32 v33, v35
	v_add_co_ci_u32_e32 v45, vcc_lo, 0, v1, vcc_lo
	v_mad_u64_u32 v[40:41], null, s19, v152, v[8:9]
	v_mad_u64_u32 v[41:42], null, s17, v28, v[33:34]
	s_mul_i32 s0, s17, 0x340
	s_mul_hi_u32 s1, s16, 0x340
	s_mul_i32 s6, s16, 0x340
	s_add_i32 s1, s1, s0
	v_mov_b32_e32 v33, v40
	s_mul_hi_u32 s8, s16, 0xfffffa50
	v_mov_b32_e32 v35, v41
	s_mul_i32 s7, s17, 0xfffffa50
	s_mul_i32 s9, s16, 0xfffffa50
	v_lshlrev_b64 v[32:33], 4, v[32:33]
	s_sub_i32 s0, s8, s16
	v_lshlrev_b64 v[34:35], 4, v[34:35]
	s_add_i32 s0, s0, s7
	s_clause 0x5
	global_load_dwordx4 v[36:39], v84, s[12:13]
	global_load_dwordx4 v[237:240], v84, s[12:13] offset:208
	global_load_dwordx4 v[143:146], v84, s[12:13] offset:832
	;; [unrolled: 1-line block ×5, first 2 shown]
	v_add_co_u32 v0, vcc_lo, s10, v32
	v_add_co_ci_u32_e32 v1, vcc_lo, s11, v33, vcc_lo
	s_clause 0x2
	global_load_dwordx4 v[11:14], v84, s[12:13] offset:1248
	global_load_dwordx4 v[15:18], v84, s[12:13] offset:416
	;; [unrolled: 1-line block ×3, first 2 shown]
	v_add_co_u32 v40, vcc_lo, v0, v34
	v_add_co_ci_u32_e32 v41, vcc_lo, v1, v35, vcc_lo
	global_load_dwordx4 v[23:26], v[44:45], off offset:32
	v_add_co_u32 v42, vcc_lo, v40, s6
	v_add_co_ci_u32_e32 v43, vcc_lo, s1, v41, vcc_lo
	global_load_dwordx4 v[76:79], v[40:41], off
	v_add_co_u32 v46, vcc_lo, v42, s6
	v_add_co_ci_u32_e32 v47, vcc_lo, s1, v43, vcc_lo
	v_mul_hi_u32 v0, 0x38e38e39, v152
	v_add_co_u32 v52, vcc_lo, v46, s9
	v_add_co_ci_u32_e32 v53, vcc_lo, s0, v47, vcc_lo
	s_clause 0x1
	global_load_dwordx4 v[56:59], v[42:43], off
	global_load_dwordx4 v[48:51], v[46:47], off
	v_add_co_u32 v54, vcc_lo, v52, s6
	v_add_co_ci_u32_e32 v55, vcc_lo, s1, v53, vcc_lo
	v_lshrrev_b32_e32 v0, 1, v0
	v_add_co_u32 v40, vcc_lo, v54, s6
	v_add_co_ci_u32_e32 v41, vcc_lo, s1, v55, vcc_lo
	s_clause 0x1
	global_load_dwordx4 v[60:63], v[52:53], off
	global_load_dwordx4 v[52:55], v[54:55], off
	v_add_co_u32 v42, vcc_lo, v40, s9
	v_add_co_ci_u32_e32 v43, vcc_lo, s0, v41, vcc_lo
	global_load_dwordx4 v[64:67], v[40:41], off
	v_add_co_u32 v46, vcc_lo, v42, s6
	v_add_co_ci_u32_e32 v47, vcc_lo, s1, v43, vcc_lo
	;; [unrolled: 3-line block ×5, first 2 shown]
	v_lshl_add_u32 v0, v0, 3, v0
	v_add_co_u32 v93, vcc_lo, v46, s6
	v_add_co_ci_u32_e32 v94, vcc_lo, s1, v47, vcc_lo
	global_load_dwordx4 v[85:88], v[42:43], off
	global_load_dwordx4 v[29:32], v84, s[12:13] offset:1456
	global_load_dwordx4 v[89:92], v[46:47], off
	global_load_dwordx4 v[40:43], v[44:45], off offset:240
	global_load_dwordx4 v[93:96], v[93:94], off
	s_load_dwordx4 s[8:11], s[2:3], 0x0
	v_sub_nc_u32_e32 v0, v152, v0
	v_mul_lo_u16 v1, v104, 3
	v_lshrrev_b16 v2, 9, v2
	s_mov_b32 s0, 0xe8584caa
	s_mov_b32 s1, 0x3febb67a
	v_mul_u32_u24_e32 v0, 0x9c, v0
	v_and_b32_e32 v1, 0xffff, v1
	s_mov_b32 s7, 0xbfebb67a
	s_mov_b32 s6, s0
	v_mul_u32_u24_e32 v5, 3, v5
	s_load_dwordx2 s[2:3], s[4:5], 0x38
	v_cmp_gt_u16_e32 vcc_lo, 12, v104
	s_waitcnt vmcnt(13)
	v_mul_f64 v[97:98], v[78:79], v[38:39]
	v_mul_f64 v[99:100], v[76:77], v[38:39]
	s_waitcnt vmcnt(12)
	v_mul_f64 v[101:102], v[58:59], v[145:146]
	s_waitcnt vmcnt(11)
	v_mul_f64 v[107:108], v[50:51], v[9:10]
	v_mul_f64 v[105:106], v[56:57], v[145:146]
	;; [unrolled: 1-line block ×3, first 2 shown]
	s_waitcnt vmcnt(10)
	v_mul_f64 v[111:112], v[62:63], v[239:240]
	v_mul_f64 v[113:114], v[60:61], v[239:240]
	s_waitcnt vmcnt(9)
	v_mul_f64 v[115:116], v[54:55], v[243:244]
	v_mul_f64 v[117:118], v[52:53], v[243:244]
	v_fma_f64 v[76:77], v[76:77], v[36:37], v[97:98]
	v_fma_f64 v[78:79], v[78:79], v[36:37], -v[99:100]
	s_waitcnt vmcnt(8)
	v_mul_f64 v[97:98], v[66:67], v[247:248]
	v_mul_f64 v[99:100], v[64:65], v[247:248]
	s_waitcnt vmcnt(7)
	v_mul_f64 v[119:120], v[70:71], v[17:18]
	v_fma_f64 v[56:57], v[56:57], v[143:144], v[101:102]
	buffer_store_dword v143, off, s[48:51], 0 offset:80 ; 4-byte Folded Spill
	buffer_store_dword v144, off, s[48:51], 0 offset:84 ; 4-byte Folded Spill
	;; [unrolled: 1-line block ×4, first 2 shown]
	v_fma_f64 v[48:49], v[48:49], v[7:8], v[107:108]
	buffer_store_dword v7, off, s[48:51], 0 ; 4-byte Folded Spill
	buffer_store_dword v8, off, s[48:51], 0 offset:4 ; 4-byte Folded Spill
	buffer_store_dword v9, off, s[48:51], 0 offset:8 ; 4-byte Folded Spill
	;; [unrolled: 1-line block ×3, first 2 shown]
	s_waitcnt vmcnt(6)
	v_mul_f64 v[123:124], v[74:75], v[13:14]
	v_mul_f64 v[121:122], v[68:69], v[17:18]
	;; [unrolled: 1-line block ×3, first 2 shown]
	v_mul_lo_u16 v9, v2, 3
	v_mul_lo_u16 v2, v2, 12
	s_waitcnt vmcnt(5)
	v_mul_f64 v[127:128], v[82:83], v[25:26]
	v_mul_f64 v[129:130], v[80:81], v[25:26]
	v_fma_f64 v[60:61], v[60:61], v[237:238], v[111:112]
	v_fma_f64 v[62:63], v[62:63], v[237:238], -v[113:114]
	v_fma_f64 v[52:53], v[52:53], v[241:242], v[115:116]
	v_fma_f64 v[54:55], v[54:55], v[241:242], -v[117:118]
	s_waitcnt vmcnt(4)
	v_mul_f64 v[131:132], v[87:88], v[21:22]
	v_mul_f64 v[133:134], v[85:86], v[21:22]
	s_waitcnt vmcnt(2)
	v_mul_f64 v[135:136], v[91:92], v[31:32]
	v_mul_f64 v[137:138], v[89:90], v[31:32]
	;; [unrolled: 3-line block ×3, first 2 shown]
	v_fma_f64 v[68:69], v[68:69], v[15:16], v[119:120]
	buffer_store_dword v15, off, s[48:51], 0 offset:32 ; 4-byte Folded Spill
	buffer_store_dword v16, off, s[48:51], 0 offset:36 ; 4-byte Folded Spill
	;; [unrolled: 1-line block ×4, first 2 shown]
	v_fma_f64 v[64:65], v[64:65], v[245:246], v[97:98]
	v_fma_f64 v[66:67], v[66:67], v[245:246], -v[99:100]
	v_sub_nc_u16 v9, v104, v9
	v_fma_f64 v[72:73], v[72:73], v[11:12], v[123:124]
	buffer_store_dword v11, off, s[48:51], 0 offset:16 ; 4-byte Folded Spill
	buffer_store_dword v12, off, s[48:51], 0 offset:20 ; 4-byte Folded Spill
	buffer_store_dword v13, off, s[48:51], 0 offset:24 ; 4-byte Folded Spill
	buffer_store_dword v14, off, s[48:51], 0 offset:28 ; 4-byte Folded Spill
	v_or_b32_e32 v2, v2, v9
	v_fma_f64 v[80:81], v[80:81], v[23:24], v[127:128]
	buffer_store_dword v23, off, s[48:51], 0 offset:64 ; 4-byte Folded Spill
	buffer_store_dword v24, off, s[48:51], 0 offset:68 ; 4-byte Folded Spill
	;; [unrolled: 1-line block ×4, first 2 shown]
	v_and_b32_e32 v2, 0xff, v2
	v_fma_f64 v[85:86], v[85:86], v[19:20], v[131:132]
	buffer_store_dword v19, off, s[48:51], 0 offset:48 ; 4-byte Folded Spill
	buffer_store_dword v20, off, s[48:51], 0 offset:52 ; 4-byte Folded Spill
	buffer_store_dword v21, off, s[48:51], 0 offset:56 ; 4-byte Folded Spill
	buffer_store_dword v22, off, s[48:51], 0 offset:60 ; 4-byte Folded Spill
	v_fma_f64 v[89:90], v[89:90], v[29:30], v[135:136]
	buffer_store_dword v29, off, s[48:51], 0 offset:96 ; 4-byte Folded Spill
	buffer_store_dword v30, off, s[48:51], 0 offset:100 ; 4-byte Folded Spill
	buffer_store_dword v31, off, s[48:51], 0 offset:104 ; 4-byte Folded Spill
	buffer_store_dword v32, off, s[48:51], 0 offset:108 ; 4-byte Folded Spill
	;; [unrolled: 5-line block ×3, first 2 shown]
	v_fma_f64 v[58:59], v[58:59], v[143:144], -v[105:106]
	v_fma_f64 v[50:51], v[50:51], v[7:8], -v[109:110]
	v_and_b32_e32 v7, 0xff, v3
	v_and_b32_e32 v8, 0xff, v4
	v_mul_lo_u16 v7, 0xab, v7
	v_mul_lo_u16 v8, 0xab, v8
	v_lshrrev_b16 v7, 9, v7
	v_lshrrev_b16 v8, 9, v8
	v_fma_f64 v[70:71], v[70:71], v[15:16], -v[121:122]
	v_fma_f64 v[74:75], v[74:75], v[11:12], -v[125:126]
	;; [unrolled: 1-line block ×5, first 2 shown]
	v_lshlrev_b32_e32 v29, 4, v0
	v_fma_f64 v[95:96], v[95:96], v[40:41], -v[141:142]
	v_mul_u32_u24_e32 v0, 3, v4
	v_add_nc_u32_e32 v255, v84, v29
	v_lshl_add_u32 v40, v1, 4, v29
	v_mul_lo_u16 v1, v7, 3
	v_lshl_add_u32 v34, v0, 4, v29
	ds_write_b128 v255, v[76:79]
	ds_write_b128 v255, v[56:59] offset:832
	ds_write_b128 v255, v[48:51] offset:1664
	;; [unrolled: 1-line block ×11, first 2 shown]
	s_waitcnt lgkmcnt(0)
	s_waitcnt_vscnt null, 0x0
	s_barrier
	buffer_gl0_inv
	ds_read_b128 v[48:51], v255 offset:1664
	ds_read_b128 v[52:55], v255 offset:832
	;; [unrolled: 1-line block ×6, first 2 shown]
	ds_read_b128 v[72:75], v255
	ds_read_b128 v[76:79], v255 offset:1456
	ds_read_b128 v[80:83], v255 offset:2288
	ds_read_b128 v[84:87], v255 offset:208
	ds_read_b128 v[88:91], v255 offset:416
	ds_read_b128 v[92:95], v255 offset:624
	v_lshl_add_u32 v32, v5, 4, v29
	v_mul_lo_u16 v0, v9, 48
	v_mul_lo_u16 v5, v8, 3
	v_sub_nc_u16 v1, v3, v1
	v_lshl_add_u32 v35, v6, 4, v29
	s_waitcnt lgkmcnt(0)
	v_and_b32_e32 v0, 0xf0, v0
	v_sub_nc_u16 v3, v4, v5
	v_mul_lo_u16 v4, v1, 48
	s_barrier
	buffer_gl0_inv
	v_lshl_add_u32 v33, v2, 4, v29
	v_add_f64 v[96:97], v[52:53], v[48:49]
	v_add_f64 v[98:99], v[54:55], v[50:51]
	;; [unrolled: 1-line block ×9, first 2 shown]
	v_add_f64 v[111:112], v[54:55], -v[50:51]
	v_add_f64 v[54:55], v[74:75], v[54:55]
	v_add_f64 v[117:118], v[52:53], -v[48:49]
	v_add_f64 v[121:122], v[88:89], v[68:69]
	v_add_f64 v[123:124], v[90:91], v[70:71]
	;; [unrolled: 1-line block ×6, first 2 shown]
	v_fma_f64 v[72:73], v[96:97], -0.5, v[72:73]
	v_fma_f64 v[74:75], v[98:99], -0.5, v[74:75]
	v_add_f64 v[96:97], v[58:59], -v[62:63]
	v_add_f64 v[98:99], v[56:57], -v[60:61]
	v_fma_f64 v[84:85], v[100:101], -0.5, v[84:85]
	v_fma_f64 v[86:87], v[102:103], -0.5, v[86:87]
	v_add_f64 v[100:101], v[70:71], -v[66:67]
	v_add_f64 v[102:103], v[68:69], -v[64:65]
	;; [unrolled: 4-line block ×3, first 2 shown]
	v_fma_f64 v[92:93], v[113:114], -0.5, v[92:93]
	v_fma_f64 v[94:95], v[115:116], -0.5, v[94:95]
	v_add_f64 v[48:49], v[107:108], v[48:49]
	v_add_f64 v[50:51], v[54:55], v[50:51]
	;; [unrolled: 1-line block ×8, first 2 shown]
	v_fma_f64 v[64:65], v[111:112], s[0:1], v[72:73]
	v_fma_f64 v[66:67], v[117:118], s[6:7], v[74:75]
	;; [unrolled: 1-line block ×16, first 2 shown]
	v_add_co_u32 v96, s0, s14, v0
	v_and_b32_e32 v0, 0xff, v3
	v_and_b32_e32 v3, 0xf0, v4
	v_add_co_ci_u32_e64 v97, null, s15, 0, s0
	ds_write_b128 v40, v[48:51]
	ds_write_b128 v40, v[64:67] offset:16
	ds_write_b128 v40, v[68:71] offset:32
	ds_write_b128 v35, v[52:55]
	ds_write_b128 v35, v[72:75] offset:16
	ds_write_b128 v35, v[76:79] offset:32
	ds_write_b128 v34, v[56:59]
	ds_write_b128 v34, v[80:83] offset:16
	ds_write_b128 v34, v[84:87] offset:32
	ds_write_b128 v32, v[60:63]
	ds_write_b128 v32, v[88:91] offset:16
	ds_write_b128 v32, v[92:95] offset:32
	v_add_co_u32 v48, s0, s14, v3
	v_add_co_ci_u32_e64 v49, null, s15, 0, s0
	v_mad_u64_u32 v[50:51], null, v0, 48, s[14:15]
	s_waitcnt lgkmcnt(0)
	s_barrier
	buffer_gl0_inv
	s_clause 0x8
	global_load_dwordx4 v[84:87], v[96:97], off offset:16
	global_load_dwordx4 v[88:91], v[96:97], off
	global_load_dwordx4 v[80:83], v[96:97], off offset:32
	global_load_dwordx4 v[72:75], v[48:49], off
	global_load_dwordx4 v[60:63], v[48:49], off offset:16
	global_load_dwordx4 v[52:55], v[48:49], off offset:32
	global_load_dwordx4 v[68:71], v[50:51], off
	global_load_dwordx4 v[64:67], v[50:51], off offset:16
	global_load_dwordx4 v[56:59], v[50:51], off offset:32
	ds_read_b128 v[48:51], v255 offset:624
	ds_read_b128 v[76:79], v255 offset:1248
	;; [unrolled: 1-line block ×10, first 2 shown]
	ds_read_b128 v[125:128], v255
	ds_read_b128 v[129:132], v255 offset:208
	v_mov_b32_e32 v3, 12
	v_mul_lo_u16 v4, v7, 12
	s_waitcnt vmcnt(0) lgkmcnt(0)
	s_barrier
	buffer_gl0_inv
	v_mul_u32_u24_sdwa v3, v8, v3 dst_sel:DWORD dst_unused:UNUSED_PAD src0_sel:WORD_0 src1_sel:DWORD
	v_or_b32_e32 v1, v4, v1
	v_or_b32_e32 v0, v3, v0
	v_and_b32_e32 v1, 0xff, v1
	v_lshl_add_u32 v30, v0, 4, v29
	v_lshl_add_u32 v31, v1, 4, v29
	v_mul_f64 v[141:142], v[94:95], v[82:83]
	v_mul_f64 v[143:144], v[92:93], v[82:83]
	;; [unrolled: 1-line block ×18, first 2 shown]
	v_fma_f64 v[92:93], v[92:93], v[80:81], -v[141:142]
	v_fma_f64 v[94:95], v[94:95], v[80:81], v[143:144]
	v_fma_f64 v[96:97], v[96:97], v[72:73], -v[145:146]
	v_fma_f64 v[98:99], v[98:99], v[72:73], v[147:148]
	v_fma_f64 v[76:77], v[76:77], v[84:85], -v[137:138]
	v_fma_f64 v[48:49], v[48:49], v[88:89], -v[133:134]
	v_fma_f64 v[50:51], v[50:51], v[88:89], v[135:136]
	v_fma_f64 v[78:79], v[78:79], v[84:85], v[139:140]
	v_fma_f64 v[100:101], v[100:101], v[60:61], -v[149:150]
	v_fma_f64 v[102:103], v[102:103], v[60:61], v[153:154]
	v_fma_f64 v[105:106], v[105:106], v[52:53], -v[155:156]
	;; [unrolled: 2-line block ×5, first 2 shown]
	v_fma_f64 v[119:120], v[119:120], v[56:57], v[169:170]
	v_add_f64 v[136:137], v[125:126], -v[76:77]
	v_add_f64 v[76:77], v[48:49], -v[92:93]
	;; [unrolled: 1-line block ×12, first 2 shown]
	v_fma_f64 v[125:126], v[125:126], 2.0, -v[136:137]
	v_fma_f64 v[48:49], v[48:49], 2.0, -v[76:77]
	;; [unrolled: 1-line block ×8, first 2 shown]
	v_add_f64 v[92:93], v[136:137], -v[78:79]
	v_fma_f64 v[120:121], v[121:122], 2.0, -v[105:106]
	v_fma_f64 v[122:123], v[123:124], 2.0, -v[150:151]
	;; [unrolled: 1-line block ×4, first 2 shown]
	v_add_f64 v[94:95], v[138:139], v[76:77]
	v_add_f64 v[140:141], v[144:145], -v[102:103]
	v_add_f64 v[142:143], v[146:147], v[100:101]
	v_add_f64 v[116:117], v[105:106], -v[113:114]
	v_add_f64 v[118:119], v[150:151], v[107:108]
	v_add_f64 v[76:77], v[125:126], -v[48:49]
	v_add_f64 v[78:79], v[127:128], -v[50:51]
	v_add_f64 v[132:133], v[129:130], -v[96:97]
	;; [unrolled: 1-line block ×3, first 2 shown]
	v_fma_f64 v[96:97], v[136:137], 2.0, -v[92:93]
	v_add_f64 v[100:101], v[120:121], -v[109:110]
	v_add_f64 v[102:103], v[122:123], -v[111:112]
	v_fma_f64 v[98:99], v[138:139], 2.0, -v[94:95]
	v_fma_f64 v[108:109], v[144:145], 2.0, -v[140:141]
	;; [unrolled: 1-line block ×5, first 2 shown]
                                        ; implicit-def: $vgpr124_vgpr125
	v_fma_f64 v[138:139], v[127:128], 2.0, -v[78:79]
	v_fma_f64 v[112:113], v[129:130], 2.0, -v[132:133]
	;; [unrolled: 1-line block ×6, first 2 shown]
	ds_write_b128 v33, v[92:95] offset:144
	ds_write_b128 v33, v[96:99] offset:48
	;; [unrolled: 1-line block ×3, first 2 shown]
	ds_write_b128 v33, v[136:139]
	ds_write_b128 v31, v[112:115]
	ds_write_b128 v31, v[108:111] offset:48
	ds_write_b128 v31, v[132:135] offset:96
	;; [unrolled: 1-line block ×3, first 2 shown]
	ds_write_b128 v30, v[144:147]
	ds_write_b128 v30, v[148:151] offset:48
	ds_write_b128 v30, v[100:103] offset:96
	ds_write_b128 v30, v[116:119] offset:144
	s_waitcnt lgkmcnt(0)
	s_barrier
	buffer_gl0_inv
	s_and_saveexec_b32 s0, vcc_lo
	s_cbranch_execz .LBB0_3
; %bb.2:
	ds_read_b128 v[136:139], v255
	ds_read_b128 v[96:99], v255 offset:192
	ds_read_b128 v[76:79], v255 offset:384
	;; [unrolled: 1-line block ×12, first 2 shown]
.LBB0_3:
	s_or_b32 exec_lo, exec_lo, s0
	v_add_nc_u32_e32 v0, -12, v28
	s_mov_b32 s6, 0x4267c47c
	s_mov_b32 s7, 0xbfddbe06
	;; [unrolled: 1-line block ×4, first 2 shown]
	v_cndmask_b32_e32 v0, v0, v28, vcc_lo
	s_mov_b32 s18, 0x66966769
	s_mov_b32 s19, 0xbfefc445
	;; [unrolled: 1-line block ×4, first 2 shown]
	v_mul_i32_i24_e32 v1, 0xc0, v0
	v_mul_hi_i32_i24_e32 v0, 0xc0, v0
	s_mov_b32 s22, 0x2ef20147
	s_mov_b32 s23, 0xbfedeba7
	;; [unrolled: 1-line block ×3, first 2 shown]
	v_add_co_u32 v181, s0, s14, v1
	v_add_co_ci_u32_e64 v182, s0, s15, v0, s0
	s_mov_b32 s0, 0xe00740e9
	s_mov_b32 s14, 0x42a4c3d2
	;; [unrolled: 1-line block ×3, first 2 shown]
	s_clause 0x3
	global_load_dwordx4 v[41:44], v[181:182], off offset:144
	global_load_dwordx4 v[104:107], v[181:182], off offset:320
	;; [unrolled: 1-line block ×4, first 2 shown]
	s_mov_b32 s15, 0xbfea55e2
	s_mov_b32 s21, 0xbfd6b1d8
	;; [unrolled: 1-line block ×10, first 2 shown]
	s_waitcnt vmcnt(3) lgkmcnt(11)
	v_mul_f64 v[153:154], v[98:99], v[43:44]
	v_mul_f64 v[155:156], v[96:97], v[43:44]
	v_fma_f64 v[227:228], v[96:97], v[41:42], -v[153:154]
	v_fma_f64 v[229:230], v[98:99], v[41:42], v[155:156]
	s_waitcnt vmcnt(2) lgkmcnt(0)
	v_mul_f64 v[96:97], v[124:125], v[106:107]
	v_mul_f64 v[98:99], v[126:127], v[106:107]
	v_fma_f64 v[175:176], v[126:127], v[104:105], v[96:97]
	v_fma_f64 v[195:196], v[124:125], v[104:105], -v[98:99]
	s_waitcnt vmcnt(1)
	v_mul_f64 v[96:97], v[78:79], v[122:123]
	v_mul_f64 v[98:99], v[76:77], v[122:123]
	v_add_f64 v[251:252], v[229:230], -v[175:176]
	v_add_f64 v[249:250], v[227:228], v[195:196]
	v_fma_f64 v[10:11], v[76:77], v[120:121], -v[96:97]
	v_fma_f64 v[8:9], v[78:79], v[120:121], v[98:99]
	s_waitcnt vmcnt(0)
	v_mul_f64 v[76:77], v[116:117], v[130:131]
	v_mul_f64 v[78:79], v[118:119], v[130:131]
	v_add_f64 v[253:254], v[227:228], -v[195:196]
	v_add_f64 v[231:232], v[229:230], v[175:176]
	v_mul_f64 v[225:226], v[251:252], s[6:7]
	v_fma_f64 v[199:200], v[118:119], v[128:129], v[76:77]
	v_fma_f64 v[177:178], v[116:117], v[128:129], -v[78:79]
	s_clause 0x3
	global_load_dwordx4 v[116:119], v[181:182], off offset:176
	global_load_dwordx4 v[24:27], v[181:182], off offset:192
	;; [unrolled: 1-line block ×4, first 2 shown]
	v_mul_f64 v[233:234], v[253:254], s[6:7]
	v_add_f64 v[211:212], v[8:9], v[199:200]
	s_waitcnt vmcnt(3)
	v_mul_f64 v[96:97], v[94:95], v[118:119]
	v_fma_f64 v[12:13], v[92:93], v[116:117], -v[96:97]
	v_mul_f64 v[92:93], v[92:93], v[118:119]
	v_fma_f64 v[179:180], v[94:95], v[116:117], v[92:93]
	s_waitcnt vmcnt(1)
	v_mul_f64 v[92:93], v[102:103], v[126:127]
	v_fma_f64 v[16:17], v[100:101], v[124:125], -v[92:93]
	v_mul_f64 v[92:93], v[100:101], v[126:127]
	v_add_f64 v[183:184], v[12:13], -v[16:17]
	v_fma_f64 v[18:19], v[102:103], v[124:125], v[92:93]
	v_mul_f64 v[92:93], v[114:115], v[26:27]
	v_mul_f64 v[191:192], v[183:184], s[18:19]
	v_add_f64 v[207:208], v[179:180], -v[18:19]
	v_fma_f64 v[22:23], v[112:113], v[24:25], -v[92:93]
	v_mul_f64 v[92:93], v[112:113], v[26:27]
	buffer_store_dword v24, off, s[48:51], 0 offset:128 ; 4-byte Folded Spill
	buffer_store_dword v25, off, s[48:51], 0 offset:132 ; 4-byte Folded Spill
	;; [unrolled: 1-line block ×4, first 2 shown]
	v_add_f64 v[217:218], v[179:180], v[18:19]
	v_mul_f64 v[94:95], v[207:208], s[18:19]
	v_fma_f64 v[26:27], v[114:115], v[24:25], v[92:93]
	s_waitcnt vmcnt(0)
	v_mul_f64 v[92:93], v[150:151], v[47:48]
	v_fma_f64 v[20:21], v[148:149], v[45:46], -v[92:93]
	v_mul_f64 v[92:93], v[148:149], v[47:48]
	buffer_store_dword v45, off, s[48:51], 0 offset:160 ; 4-byte Folded Spill
	buffer_store_dword v46, off, s[48:51], 0 offset:164 ; 4-byte Folded Spill
	buffer_store_dword v47, off, s[48:51], 0 offset:168 ; 4-byte Folded Spill
	buffer_store_dword v48, off, s[48:51], 0 offset:172 ; 4-byte Folded Spill
	s_clause 0x1
	global_load_dwordx4 v[47:50], v[181:182], off offset:208
	global_load_dwordx4 v[100:103], v[181:182], off offset:224
	v_add_f64 v[197:198], v[22:23], -v[20:21]
	v_mul_f64 v[96:97], v[197:198], s[22:23]
	v_fma_f64 v[24:25], v[150:151], v[45:46], v[92:93]
	s_waitcnt vmcnt(1)
	v_mul_f64 v[112:113], v[110:111], v[49:50]
	v_add_f64 v[215:216], v[26:27], -v[24:25]
	v_fma_f64 v[45:46], v[108:109], v[47:48], -v[112:113]
	v_mul_f64 v[108:109], v[108:109], v[49:50]
	buffer_store_dword v47, off, s[48:51], 0 offset:144 ; 4-byte Folded Spill
	buffer_store_dword v48, off, s[48:51], 0 offset:148 ; 4-byte Folded Spill
	;; [unrolled: 1-line block ×4, first 2 shown]
	v_mul_f64 v[187:188], v[215:216], s[22:23]
	v_fma_f64 v[47:48], v[110:111], v[47:48], v[108:109]
	s_clause 0x1
	global_load_dwordx4 v[108:111], v[181:182], off offset:256
	global_load_dwordx4 v[112:115], v[181:182], off offset:240
	buffer_store_dword v26, off, s[48:51], 0 offset:176 ; 4-byte Folded Spill
	buffer_store_dword v27, off, s[48:51], 0 offset:180 ; 4-byte Folded Spill
	;; [unrolled: 1-line block ×4, first 2 shown]
	s_waitcnt vmcnt(1)
	v_mul_f64 v[181:182], v[146:147], v[110:111]
	v_add_f64 v[221:222], v[26:27], v[24:25]
	v_fma_f64 v[76:77], v[144:145], v[108:109], -v[181:182]
	v_mul_f64 v[144:145], v[144:145], v[110:111]
	v_add_f64 v[189:190], v[45:46], v[76:77]
	v_fma_f64 v[49:50], v[146:147], v[108:109], v[144:145]
	v_mul_f64 v[144:145], v[134:135], v[102:103]
	v_add_f64 v[146:147], v[8:9], -v[199:200]
	v_add_f64 v[209:210], v[45:46], -v[76:77]
	;; [unrolled: 1-line block ×3, first 2 shown]
	v_fma_f64 v[150:151], v[132:133], v[100:101], -v[144:145]
	v_mul_f64 v[132:133], v[132:133], v[102:103]
	v_mul_f64 v[78:79], v[146:147], s[14:15]
	v_add_f64 v[223:224], v[47:48], v[49:50]
	v_mul_f64 v[173:174], v[209:210], s[26:27]
	v_mul_f64 v[161:162], v[219:220], s[26:27]
	v_fma_f64 v[203:204], v[134:135], v[100:101], v[132:133]
	s_waitcnt vmcnt(0)
	v_mul_f64 v[132:133], v[142:143], v[114:115]
	v_fma_f64 v[153:154], v[140:141], v[112:113], -v[132:133]
	v_mul_f64 v[132:133], v[140:141], v[114:115]
	v_add_f64 v[140:141], v[10:11], v[177:178]
	v_fma_f64 v[205:206], v[142:143], v[112:113], v[132:133]
	v_fma_f64 v[132:133], v[249:250], s[0:1], v[225:226]
	v_fma_f64 v[134:135], v[140:141], s[4:5], v[78:79]
	v_add_f64 v[142:143], v[10:11], -v[177:178]
	v_add_f64 v[98:99], v[203:204], -v[205:206]
	v_add_f64 v[132:133], v[136:137], v[132:133]
	v_add_f64 v[213:214], v[203:204], v[205:206]
	v_mul_f64 v[92:93], v[142:143], s[14:15]
	v_mul_f64 v[148:149], v[98:99], s[30:31]
	v_add_f64 v[132:133], v[134:135], v[132:133]
	v_fma_f64 v[134:135], v[231:232], s[0:1], -v[233:234]
	v_fma_f64 v[144:145], v[211:212], s[4:5], -v[92:93]
	v_add_f64 v[134:135], v[138:139], v[134:135]
	v_add_f64 v[134:135], v[144:145], v[134:135]
	;; [unrolled: 1-line block ×3, first 2 shown]
	v_fma_f64 v[181:182], v[144:145], s[16:17], v[94:95]
	v_add_f64 v[132:133], v[181:182], v[132:133]
	v_fma_f64 v[181:182], v[217:218], s[16:17], -v[191:192]
	v_add_f64 v[134:135], v[181:182], v[134:135]
	v_add_f64 v[181:182], v[22:23], v[20:21]
	v_fma_f64 v[185:186], v[181:182], s[20:21], v[187:188]
	v_add_f64 v[132:133], v[185:186], v[132:133]
	v_fma_f64 v[185:186], v[221:222], s[20:21], -v[96:97]
	v_add_f64 v[134:135], v[185:186], v[134:135]
	v_fma_f64 v[185:186], v[189:190], s[24:25], v[161:162]
	v_add_f64 v[132:133], v[185:186], v[132:133]
	v_fma_f64 v[185:186], v[223:224], s[24:25], -v[173:174]
	v_add_f64 v[134:135], v[185:186], v[134:135]
	v_add_f64 v[185:186], v[150:151], v[153:154]
	v_fma_f64 v[201:202], v[185:186], s[28:29], v[148:149]
	v_add_f64 v[132:133], v[201:202], v[132:133]
	v_add_f64 v[201:202], v[150:151], -v[153:154]
	v_mul_f64 v[24:25], v[201:202], s[30:31]
	v_fma_f64 v[235:236], v[213:214], s[28:29], -v[24:25]
	v_add_f64 v[134:135], v[235:236], v[134:135]
	s_and_saveexec_b32 s33, vcc_lo
	s_cbranch_execz .LBB0_5
; %bb.4:
	v_mul_f64 v[235:236], v[231:232], s[0:1]
	buffer_store_dword v28, off, s[48:51], 0 offset:192 ; 4-byte Folded Spill
	buffer_store_dword v29, off, s[48:51], 0 offset:196 ; 4-byte Folded Spill
	;; [unrolled: 1-line block ×12, first 2 shown]
	v_mov_b32_e32 v26, v161
	v_mul_f64 v[242:243], v[231:232], s[20:21]
	v_mul_f64 v[159:160], v[251:252], s[26:27]
	v_mov_b32_e32 v27, v162
	v_mul_f64 v[161:162], v[251:252], s[22:23]
	v_mov_b32_e32 v32, v41
	s_mov_b32 s43, 0x3fedeba7
	s_mov_b32 s42, s22
	buffer_store_dword v40, off, s[48:51], 0 offset:224 ; 4-byte Folded Spill
	v_mov_b32_e32 v33, v42
	v_mov_b32_e32 v34, v43
	;; [unrolled: 1-line block ×10, first 2 shown]
	v_add_f64 v[233:234], v[233:234], v[235:236]
	v_mul_f64 v[235:236], v[249:250], s[0:1]
	v_mov_b32_e32 v39, v248
	v_mul_f64 v[244:245], v[231:232], s[16:17]
	v_fma_f64 v[155:156], v[253:254], s[42:43], v[242:243]
	v_fma_f64 v[167:168], v[249:250], s[24:25], v[159:160]
	v_fma_f64 v[159:160], v[249:250], s[24:25], -v[159:160]
	v_fma_f64 v[0:1], v[249:250], s[20:21], v[161:162]
	v_mov_b32_e32 v28, v237
	v_mov_b32_e32 v29, v238
	v_mov_b32_e32 v30, v239
	v_mov_b32_e32 v31, v240
	v_mul_f64 v[240:241], v[231:232], s[24:25]
	s_mov_b32 s41, 0x3fefc445
	s_mov_b32 s40, s18
	;; [unrolled: 1-line block ×8, first 2 shown]
	buffer_store_dword v153, off, s[48:51], 0 offset:292 ; 4-byte Folded Spill
	buffer_store_dword v154, off, s[48:51], 0 offset:296 ; 4-byte Folded Spill
	v_mul_f64 v[163:164], v[251:252], s[18:19]
	v_add_f64 v[225:226], v[235:236], -v[225:226]
	v_mul_f64 v[235:236], v[231:232], s[28:29]
	v_mul_f64 v[231:232], v[231:232], s[4:5]
	v_add_f64 v[155:156], v[138:139], v[155:156]
	v_fma_f64 v[246:247], v[253:254], s[40:41], v[244:245]
	v_add_f64 v[159:160], v[136:137], v[159:160]
	v_add_f64 v[0:1], v[136:137], v[0:1]
	v_fma_f64 v[242:243], v[253:254], s[22:23], v[242:243]
	v_fma_f64 v[244:245], v[253:254], s[18:19], v[244:245]
	s_mov_b32 s45, 0x3fddbe06
	s_mov_b32 s44, s6
	v_fma_f64 v[153:154], v[253:254], s[34:35], v[240:241]
	v_fma_f64 v[240:241], v[253:254], s[26:27], v[240:241]
	v_fma_f64 v[2:3], v[249:250], s[20:21], -v[161:162]
	v_add_f64 v[233:234], v[138:139], v[233:234]
	v_add_f64 v[167:168], v[136:137], v[167:168]
	v_mul_f64 v[169:170], v[213:214], s[16:17]
	v_mul_f64 v[171:172], v[98:99], s[40:41]
	;; [unrolled: 1-line block ×3, first 2 shown]
	buffer_store_dword v159, off, s[48:51], 0 offset:284 ; 4-byte Folded Spill
	buffer_store_dword v160, off, s[48:51], 0 offset:288 ; 4-byte Folded Spill
	v_fma_f64 v[237:238], v[253:254], s[38:39], v[235:236]
	v_fma_f64 v[235:236], v[253:254], s[30:31], v[235:236]
	;; [unrolled: 1-line block ×4, first 2 shown]
	v_mul_f64 v[253:254], v[251:252], s[30:31]
	v_mul_f64 v[251:252], v[251:252], s[14:15]
	buffer_store_dword v155, off, s[48:51], 0 offset:260 ; 4-byte Folded Spill
	buffer_store_dword v156, off, s[48:51], 0 offset:264 ; 4-byte Folded Spill
	;; [unrolled: 1-line block ×4, first 2 shown]
	v_add_f64 v[0:1], v[138:139], v[246:247]
	v_fma_f64 v[161:162], v[249:250], s[16:17], -v[163:164]
	v_fma_f64 v[163:164], v[249:250], s[16:17], v[163:164]
	v_add_f64 v[153:154], v[138:139], v[153:154]
	v_add_f64 v[159:160], v[138:139], v[242:243]
	;; [unrolled: 1-line block ×4, first 2 shown]
	v_fma_f64 v[14:15], v[185:186], s[20:21], v[193:194]
	buffer_store_dword v0, off, s[48:51], 0 offset:244 ; 4-byte Folded Spill
	buffer_store_dword v1, off, s[48:51], 0 offset:248 ; 4-byte Folded Spill
	v_fma_f64 v[165:166], v[249:250], s[28:29], v[253:254]
	v_fma_f64 v[253:254], v[249:250], s[28:29], -v[253:254]
	v_fma_f64 v[4:5], v[249:250], s[4:5], -v[251:252]
	v_fma_f64 v[6:7], v[249:250], s[4:5], v[251:252]
	v_add_f64 v[251:252], v[136:137], v[227:228]
	v_mul_f64 v[227:228], v[146:147], s[44:45]
	v_add_f64 v[0:1], v[136:137], v[163:164]
	v_add_f64 v[237:238], v[138:139], v[237:238]
	;; [unrolled: 1-line block ×6, first 2 shown]
	buffer_store_dword v0, off, s[48:51], 0 offset:268 ; 4-byte Folded Spill
	buffer_store_dword v1, off, s[48:51], 0 offset:272 ; 4-byte Folded Spill
	v_add_f64 v[165:166], v[136:137], v[165:166]
	v_add_f64 v[235:236], v[136:137], v[253:254]
	v_add_f64 v[253:254], v[138:139], v[240:241]
	v_add_f64 v[240:241], v[136:137], v[225:226]
	v_mul_f64 v[225:226], v[211:212], s[0:1]
	v_fma_f64 v[138:139], v[140:141], s[0:1], v[227:228]
	v_add_f64 v[4:5], v[136:137], v[4:5]
	v_add_f64 v[161:162], v[136:137], v[161:162]
	;; [unrolled: 1-line block ×3, first 2 shown]
	buffer_store_dword v0, off, s[48:51], 0 offset:276 ; 4-byte Folded Spill
	buffer_store_dword v1, off, s[48:51], 0 offset:280 ; 4-byte Folded Spill
	v_fma_f64 v[136:137], v[142:143], s[6:7], v[225:226]
	v_add_f64 v[138:139], v[138:139], v[165:166]
	v_mul_f64 v[165:166], v[217:218], s[24:25]
	v_mov_b32_e32 v0, v10
	v_mov_b32_e32 v1, v11
	v_add_f64 v[136:137], v[136:137], v[237:238]
	v_fma_f64 v[231:232], v[183:184], s[34:35], v[165:166]
	v_fma_f64 v[165:166], v[183:184], s[26:27], v[165:166]
	v_add_f64 v[136:137], v[231:232], v[136:137]
	v_mul_f64 v[231:232], v[207:208], s[26:27]
	v_fma_f64 v[237:238], v[144:145], s[24:25], v[231:232]
	v_add_f64 v[138:139], v[237:238], v[138:139]
	v_mul_f64 v[237:238], v[221:222], s[4:5]
	;; [unrolled: 3-line block ×5, first 2 shown]
	v_fma_f64 v[6:7], v[189:190], s[20:21], v[246:247]
	v_add_f64 v[6:7], v[6:7], v[138:139]
	v_fma_f64 v[138:139], v[201:202], s[18:19], v[169:170]
	v_fma_f64 v[169:170], v[201:202], s[40:41], v[169:170]
	v_add_f64 v[138:139], v[138:139], v[136:137]
	v_fma_f64 v[136:137], v[185:186], s[16:17], v[171:172]
	v_fma_f64 v[171:172], v[185:186], s[16:17], -v[171:172]
	v_add_f64 v[136:137], v[136:137], v[6:7]
	v_fma_f64 v[6:7], v[142:143], s[44:45], v[225:226]
	v_fma_f64 v[225:226], v[140:141], s[0:1], -v[227:228]
	v_add_f64 v[6:7], v[6:7], v[229:230]
	v_add_f64 v[225:226], v[225:226], v[235:236]
	v_mul_f64 v[235:236], v[221:222], s[20:21]
	v_add_f64 v[6:7], v[165:166], v[6:7]
	v_fma_f64 v[165:166], v[144:145], s[24:25], -v[231:232]
	v_add_f64 v[165:166], v[165:166], v[225:226]
	v_fma_f64 v[225:226], v[197:198], s[36:37], v[237:238]
	v_mul_f64 v[237:238], v[221:222], s[28:29]
	v_add_f64 v[6:7], v[225:226], v[6:7]
	v_fma_f64 v[225:226], v[181:182], s[4:5], -v[242:243]
	v_mov_b32_e32 v243, v97
	v_mov_b32_e32 v242, v96
	v_mul_f64 v[96:97], v[219:220], s[44:45]
	v_add_f64 v[235:236], v[242:243], v[235:236]
	v_add_f64 v[165:166], v[225:226], v[165:166]
	v_fma_f64 v[225:226], v[209:210], s[22:23], v[244:245]
	v_fma_f64 v[10:11], v[189:190], s[0:1], v[96:97]
	v_add_f64 v[6:7], v[225:226], v[6:7]
	v_fma_f64 v[225:226], v[189:190], s[20:21], -v[246:247]
	v_mul_f64 v[245:246], v[215:216], s[38:39]
	v_mul_f64 v[247:248], v[223:224], s[0:1]
	v_add_f64 v[227:228], v[169:170], v[6:7]
	v_add_f64 v[165:166], v[225:226], v[165:166]
	v_mul_f64 v[6:7], v[211:212], s[16:17]
	v_add_f64 v[225:226], v[171:172], v[165:166]
	v_fma_f64 v[165:166], v[142:143], s[18:19], v[6:7]
	v_fma_f64 v[6:7], v[142:143], s[40:41], v[6:7]
	v_add_f64 v[153:154], v[165:166], v[153:154]
	v_mul_f64 v[165:166], v[146:147], s[40:41]
	v_add_f64 v[6:7], v[6:7], v[253:254]
	v_fma_f64 v[169:170], v[140:141], s[16:17], v[165:166]
	v_fma_f64 v[165:166], v[140:141], s[16:17], -v[165:166]
	v_add_f64 v[167:168], v[169:170], v[167:168]
	v_mul_f64 v[169:170], v[217:218], s[4:5]
	v_fma_f64 v[171:172], v[183:184], s[36:37], v[169:170]
	v_add_f64 v[153:154], v[171:172], v[153:154]
	v_mul_f64 v[171:172], v[207:208], s[14:15]
	v_fma_f64 v[229:230], v[144:145], s[4:5], v[171:172]
	v_add_f64 v[167:168], v[229:230], v[167:168]
	v_fma_f64 v[229:230], v[197:198], s[30:31], v[237:238]
	v_add_f64 v[153:154], v[229:230], v[153:154]
	v_fma_f64 v[229:230], v[181:182], s[28:29], v[245:246]
	v_add_f64 v[167:168], v[229:230], v[167:168]
	v_fma_f64 v[229:230], v[209:210], s[6:7], v[247:248]
	v_add_f64 v[10:11], v[10:11], v[167:168]
	v_mul_f64 v[167:168], v[213:214], s[20:21]
	v_add_f64 v[153:154], v[229:230], v[153:154]
	v_fma_f64 v[229:230], v[201:202], s[42:43], v[167:168]
	v_add_f64 v[231:232], v[229:230], v[153:154]
	v_add_f64 v[229:230], v[14:15], v[10:11]
	v_mul_f64 v[10:11], v[211:212], s[4:5]
	v_mul_f64 v[14:15], v[140:141], s[4:5]
	v_mul_f64 v[153:154], v[217:218], s[16:17]
	v_add_f64 v[10:11], v[92:93], v[10:11]
	v_add_f64 v[14:15], v[14:15], -v[78:79]
	v_add_f64 v[153:154], v[191:192], v[153:154]
	v_mul_f64 v[78:79], v[207:208], s[30:31]
	v_mul_f64 v[92:93], v[215:216], s[34:35]
	;; [unrolled: 1-line block ×3, first 2 shown]
	v_add_f64 v[10:11], v[10:11], v[233:234]
	v_mul_f64 v[233:234], v[144:145], s[16:17]
	v_add_f64 v[14:15], v[14:15], v[240:241]
	v_mul_f64 v[239:240], v[217:218], s[28:29]
	v_add_f64 v[10:11], v[153:154], v[10:11]
	v_add_f64 v[233:234], v[233:234], -v[94:95]
	v_mul_f64 v[153:154], v[181:182], s[20:21]
	v_mov_b32_e32 v95, v50
	v_mov_b32_e32 v94, v49
	;; [unrolled: 1-line block ×4, first 2 shown]
	v_fma_f64 v[22:23], v[181:182], s[24:25], -v[92:93]
	v_add_f64 v[10:11], v[235:236], v[10:11]
	v_add_f64 v[14:15], v[233:234], v[14:15]
	v_add_f64 v[153:154], v[153:154], -v[187:188]
	v_mul_f64 v[233:234], v[223:224], s[24:25]
	v_mul_f64 v[235:236], v[189:190], s[24:25]
	v_mov_b32_e32 v188, v19
	v_mov_b32_e32 v187, v18
	v_fma_f64 v[18:19], v[144:145], s[28:29], -v[78:79]
	v_add_f64 v[14:15], v[153:154], v[14:15]
	v_add_f64 v[233:234], v[173:174], v[233:234]
	v_mul_f64 v[153:154], v[213:214], s[28:29]
	v_add_f64 v[235:236], v[235:236], -v[26:27]
	v_mul_f64 v[173:174], v[219:220], s[40:41]
	v_add_f64 v[10:11], v[233:234], v[10:11]
	v_add_f64 v[153:154], v[24:25], v[153:154]
	v_mul_f64 v[233:234], v[185:186], s[28:29]
	v_add_f64 v[14:15], v[235:236], v[14:15]
	v_mul_f64 v[24:25], v[213:214], s[0:1]
	v_add_f64 v[235:236], v[153:154], v[10:11]
	v_add_f64 v[233:234], v[233:234], -v[148:149]
	v_mul_f64 v[10:11], v[211:212], s[20:21]
	v_fma_f64 v[26:27], v[201:202], s[44:45], v[24:25]
	v_fma_f64 v[24:25], v[201:202], s[6:7], v[24:25]
	v_add_f64 v[233:234], v[233:234], v[14:15]
	v_fma_f64 v[14:15], v[142:143], s[22:23], v[10:11]
	v_fma_f64 v[10:11], v[142:143], s[42:43], v[10:11]
	v_add_f64 v[14:15], v[14:15], v[157:158]
	v_mul_f64 v[157:158], v[146:147], s[22:23]
	v_add_f64 v[10:11], v[10:11], v[163:164]
	v_fma_f64 v[153:154], v[140:141], s[20:21], -v[157:158]
	v_add_f64 v[4:5], v[153:154], v[4:5]
	v_fma_f64 v[153:154], v[183:184], s[30:31], v[239:240]
	v_add_f64 v[4:5], v[18:19], v[4:5]
	v_mul_f64 v[18:19], v[221:222], s[24:25]
	v_add_f64 v[14:15], v[153:154], v[14:15]
	v_add_f64 v[4:5], v[22:23], v[4:5]
	v_fma_f64 v[153:154], v[197:198], s[34:35], v[18:19]
	v_mul_f64 v[22:23], v[223:224], s[16:17]
	v_fma_f64 v[18:19], v[197:198], s[26:27], v[18:19]
	v_add_f64 v[14:15], v[153:154], v[14:15]
	v_fma_f64 v[153:154], v[209:210], s[40:41], v[22:23]
	v_fma_f64 v[22:23], v[209:210], s[18:19], v[22:23]
	v_add_f64 v[14:15], v[153:154], v[14:15]
	v_fma_f64 v[153:154], v[189:190], s[16:17], -v[173:174]
	v_add_f64 v[243:244], v[26:27], v[14:15]
	v_mul_f64 v[14:15], v[98:99], s[44:45]
	v_add_f64 v[4:5], v[153:154], v[4:5]
	v_fma_f64 v[26:27], v[185:186], s[0:1], -v[14:15]
	v_fma_f64 v[14:15], v[185:186], s[0:1], v[14:15]
	v_add_f64 v[241:242], v[26:27], v[4:5]
	v_add_f64 v[26:27], v[251:252], v[0:1]
	s_clause 0x1
	buffer_load_dword v0, off, s[48:51], 0 offset:176
	buffer_load_dword v1, off, s[48:51], 0 offset:180
	v_add_f64 v[4:5], v[249:250], v[8:9]
	v_add_f64 v[26:27], v[26:27], v[12:13]
	;; [unrolled: 1-line block ×3, first 2 shown]
	v_mul_f64 v[179:180], v[221:222], s[0:1]
	v_add_f64 v[26:27], v[26:27], v[50:51]
	v_add_f64 v[26:27], v[26:27], v[45:46]
	;; [unrolled: 1-line block ×3, first 2 shown]
	s_waitcnt vmcnt(0)
	v_add_f64 v[4:5], v[4:5], v[0:1]
	s_clause 0x1
	buffer_load_dword v0, off, s[48:51], 0 offset:292
	buffer_load_dword v1, off, s[48:51], 0 offset:296
	v_add_f64 v[4:5], v[4:5], v[47:48]
	v_add_f64 v[4:5], v[4:5], v[203:204]
	;; [unrolled: 1-line block ×4, first 2 shown]
	s_waitcnt vmcnt(0)
	v_add_f64 v[26:27], v[26:27], v[0:1]
	s_clause 0x3
	buffer_load_dword v0, off, s[48:51], 0 offset:184
	buffer_load_dword v1, off, s[48:51], 0 offset:188
	;; [unrolled: 1-line block ×4, first 2 shown]
	v_add_f64 v[26:27], v[26:27], v[76:77]
	v_add_f64 v[26:27], v[26:27], v[20:21]
	v_fma_f64 v[20:21], v[181:182], s[24:25], v[92:93]
	v_add_f64 v[26:27], v[26:27], v[16:17]
	v_fma_f64 v[16:17], v[144:145], s[28:29], v[78:79]
	v_add_f64 v[26:27], v[26:27], v[177:178]
	v_mul_f64 v[177:178], v[207:208], s[42:43]
	v_mul_f64 v[207:208], v[207:208], s[44:45]
	v_add_f64 v[148:149], v[26:27], v[195:196]
	v_mul_f64 v[195:196], v[219:220], s[14:15]
	v_mul_f64 v[219:220], v[219:220], s[38:39]
	s_waitcnt vmcnt(2)
	v_add_f64 v[4:5], v[4:5], v[0:1]
	v_add_f64 v[4:5], v[4:5], v[187:188]
	v_mul_f64 v[187:188], v[215:216], s[44:45]
	v_mul_f64 v[215:216], v[215:216], s[18:19]
	v_add_f64 v[4:5], v[4:5], v[199:200]
	v_mul_f64 v[199:200], v[213:214], s[24:25]
	v_fma_f64 v[163:164], v[181:182], s[0:1], v[187:188]
	v_add_f64 v[150:151], v[4:5], v[175:176]
	v_mul_f64 v[175:176], v[146:147], s[30:31]
	v_mul_f64 v[4:5], v[211:212], s[28:29]
	;; [unrolled: 1-line block ×3, first 2 shown]
	v_fma_f64 v[153:154], v[140:141], s[28:29], -v[175:176]
	v_fma_f64 v[26:27], v[142:143], s[30:31], v[4:5]
	v_fma_f64 v[4:5], v[142:143], s[38:39], v[4:5]
	v_add_f64 v[153:154], v[153:154], v[161:162]
	v_mul_f64 v[161:162], v[217:218], s[20:21]
	v_add_f64 v[26:27], v[26:27], v[155:156]
	v_fma_f64 v[155:156], v[183:184], s[42:43], v[161:162]
	v_fma_f64 v[161:162], v[183:184], s[22:23], v[161:162]
	v_add_f64 v[26:27], v[155:156], v[26:27]
	v_fma_f64 v[155:156], v[144:145], s[20:21], -v[177:178]
	v_add_f64 v[153:154], v[155:156], v[153:154]
	v_fma_f64 v[155:156], v[197:198], s[44:45], v[179:180]
	v_add_f64 v[26:27], v[155:156], v[26:27]
	v_fma_f64 v[155:156], v[181:182], s[0:1], -v[187:188]
	v_add_f64 v[153:154], v[155:156], v[153:154]
	v_fma_f64 v[155:156], v[209:210], s[14:15], v[191:192]
	v_add_f64 v[26:27], v[155:156], v[26:27]
	v_fma_f64 v[155:156], v[189:190], s[4:5], -v[195:196]
	v_add_f64 v[153:154], v[155:156], v[153:154]
	v_fma_f64 v[155:156], v[201:202], s[26:27], v[199:200]
	v_add_f64 v[155:156], v[155:156], v[26:27]
	v_mul_f64 v[26:27], v[98:99], s[26:27]
	v_fma_f64 v[203:204], v[185:186], s[24:25], -v[26:27]
	v_fma_f64 v[26:27], v[185:186], s[24:25], v[26:27]
	v_add_f64 v[153:154], v[203:204], v[153:154]
	v_mul_f64 v[203:204], v[211:212], s[24:25]
	v_fma_f64 v[205:206], v[142:143], s[34:35], v[203:204]
	v_add_f64 v[0:1], v[205:206], v[159:160]
	s_waitcnt vmcnt(0)
	v_add_f64 v[159:160], v[165:166], v[8:9]
	v_fma_f64 v[165:166], v[183:184], s[14:15], v[169:170]
	v_fma_f64 v[8:9], v[189:190], s[0:1], -v[96:97]
	v_fma_f64 v[205:206], v[140:141], s[24:25], -v[146:147]
	v_fma_f64 v[146:147], v[140:141], s[24:25], v[146:147]
	v_add_f64 v[6:7], v[165:166], v[6:7]
	v_fma_f64 v[165:166], v[144:145], s[4:5], -v[171:172]
	v_add_f64 v[2:3], v[205:206], v[2:3]
	v_mul_f64 v[205:206], v[217:218], s[0:1]
	v_add_f64 v[159:160], v[165:166], v[159:160]
	v_fma_f64 v[165:166], v[197:198], s[38:39], v[237:238]
	v_fma_f64 v[211:212], v[183:184], s[44:45], v[205:206]
	v_add_f64 v[6:7], v[165:166], v[6:7]
	v_fma_f64 v[165:166], v[181:182], s[28:29], -v[245:246]
	v_add_f64 v[0:1], v[211:212], v[0:1]
	v_fma_f64 v[211:212], v[144:145], s[0:1], -v[207:208]
	v_add_f64 v[159:160], v[165:166], v[159:160]
	v_fma_f64 v[165:166], v[209:210], s[44:45], v[247:248]
	v_mov_b32_e32 v248, v39
	v_mov_b32_e32 v247, v38
	;; [unrolled: 1-line block ×8, first 2 shown]
	s_clause 0x2
	buffer_load_dword v40, off, s[48:51], 0 offset:224
	buffer_load_dword v12, off, s[48:51], 0 offset:260
	;; [unrolled: 1-line block ×3, first 2 shown]
	v_add_f64 v[2:3], v[211:212], v[2:3]
	v_mul_f64 v[211:212], v[221:222], s[16:17]
	v_mov_b32_e32 v44, v35
	v_mov_b32_e32 v43, v34
	;; [unrolled: 1-line block ×4, first 2 shown]
	v_add_f64 v[8:9], v[8:9], v[159:160]
	v_fma_f64 v[159:160], v[142:143], s[26:27], v[203:204]
	v_fma_f64 v[142:143], v[140:141], s[28:29], v[175:176]
	;; [unrolled: 1-line block ×4, first 2 shown]
	v_mov_b32_e32 v240, v31
	v_mov_b32_e32 v239, v30
	;; [unrolled: 1-line block ×4, first 2 shown]
	v_add_f64 v[6:7], v[165:166], v[6:7]
	v_fma_f64 v[165:166], v[183:184], s[6:7], v[205:206]
	v_fma_f64 v[217:218], v[197:198], s[18:19], v[211:212]
	v_add_f64 v[10:11], v[157:158], v[10:11]
	v_fma_f64 v[157:158], v[181:182], s[16:17], v[215:216]
	v_add_f64 v[0:1], v[217:218], v[0:1]
	v_fma_f64 v[217:218], v[181:182], s[16:17], -v[215:216]
	v_add_f64 v[10:11], v[18:19], v[10:11]
	v_fma_f64 v[18:19], v[189:190], s[28:29], v[219:220]
	v_add_f64 v[2:3], v[217:218], v[2:3]
	v_mul_f64 v[217:218], v[223:224], s[28:29]
	v_add_f64 v[10:11], v[22:23], v[10:11]
	v_mul_f64 v[22:23], v[98:99], s[36:37]
	v_fma_f64 v[221:222], v[209:210], s[38:39], v[217:218]
	v_add_f64 v[0:1], v[221:222], v[0:1]
	v_fma_f64 v[221:222], v[189:190], s[28:29], -v[219:220]
	v_add_f64 v[2:3], v[221:222], v[2:3]
	s_waitcnt vmcnt(0)
	v_add_f64 v[159:160], v[159:160], v[12:13]
	s_clause 0x1
	buffer_load_dword v12, off, s[48:51], 0 offset:252
	buffer_load_dword v13, off, s[48:51], 0 offset:256
	v_add_f64 v[159:160], v[165:166], v[159:160]
	v_fma_f64 v[165:166], v[144:145], s[0:1], v[207:208]
	s_waitcnt vmcnt(0)
	v_add_f64 v[146:147], v[146:147], v[12:13]
	s_clause 0x1
	buffer_load_dword v12, off, s[48:51], 0 offset:244
	buffer_load_dword v13, off, s[48:51], 0 offset:248
	v_add_f64 v[146:147], v[165:166], v[146:147]
	s_waitcnt vmcnt(0)
	v_add_f64 v[4:5], v[4:5], v[12:13]
	s_clause 0x5
	buffer_load_dword v12, off, s[48:51], 0 offset:268
	buffer_load_dword v13, off, s[48:51], 0 offset:272
	;; [unrolled: 1-line block ×6, first 2 shown]
	v_add_f64 v[4:5], v[161:162], v[4:5]
	v_fma_f64 v[161:162], v[144:145], s[20:21], v[177:178]
	v_fma_f64 v[144:145], v[197:198], s[40:41], v[211:212]
	s_waitcnt vmcnt(4)
	v_add_f64 v[142:143], v[142:143], v[12:13]
	s_clause 0x1
	buffer_load_dword v12, off, s[48:51], 0 offset:276
	buffer_load_dword v13, off, s[48:51], 0 offset:280
	v_add_f64 v[142:143], v[161:162], v[142:143]
	v_fma_f64 v[161:162], v[197:198], s[6:7], v[179:180]
	v_add_f64 v[142:143], v[163:164], v[142:143]
	v_add_f64 v[4:5], v[161:162], v[4:5]
	v_fma_f64 v[161:162], v[189:190], s[16:17], v[173:174]
	v_fma_f64 v[163:164], v[201:202], s[34:35], v[199:200]
	s_waitcnt vmcnt(0)
	v_add_f64 v[140:141], v[140:141], v[12:13]
	v_fma_f64 v[12:13], v[185:186], s[20:21], -v[193:194]
	v_add_f64 v[16:17], v[16:17], v[140:141]
	v_add_f64 v[140:141], v[144:145], v[159:160]
	;; [unrolled: 1-line block ×3, first 2 shown]
	v_fma_f64 v[146:147], v[209:210], s[30:31], v[217:218]
	v_fma_f64 v[159:160], v[189:190], s[4:5], v[195:196]
	;; [unrolled: 1-line block ×3, first 2 shown]
	v_add_f64 v[16:17], v[20:21], v[16:17]
	v_add_f64 v[18:19], v[18:19], v[144:145]
	v_add_f64 v[20:21], v[146:147], v[140:141]
	v_mul_f64 v[140:141], v[213:214], s[4:5]
	v_add_f64 v[165:166], v[159:160], v[142:143]
	v_add_f64 v[4:5], v[157:158], v[4:5]
	v_fma_f64 v[144:145], v[201:202], s[22:23], v[167:168]
	v_add_f64 v[167:168], v[24:25], v[10:11]
	v_add_f64 v[16:17], v[161:162], v[16:17]
	v_fma_f64 v[142:143], v[201:202], s[36:37], v[140:141]
	v_fma_f64 v[157:158], v[201:202], s[14:15], v[140:141]
	v_fma_f64 v[140:141], v[185:186], s[4:5], -v[22:23]
	v_fma_f64 v[22:23], v[185:186], s[4:5], v[22:23]
	v_add_f64 v[146:147], v[144:145], v[6:7]
	v_add_f64 v[144:145], v[12:13], v[8:9]
	;; [unrolled: 1-line block ×6, first 2 shown]
	v_lshl_add_u32 v0, v28, 4, v29
	ds_write_b128 v255, v[148:151]
	ds_write_b128 v0, v[233:236] offset:192
	ds_write_b128 v0, v[241:244] offset:384
	s_clause 0x7
	buffer_load_dword v241, off, s[48:51], 0 offset:228
	buffer_load_dword v242, off, s[48:51], 0 offset:232
	;; [unrolled: 1-line block ×8, first 2 shown]
	v_add_f64 v[140:141], v[140:141], v[2:3]
	v_add_f64 v[159:160], v[157:158], v[20:21]
	;; [unrolled: 1-line block ×3, first 2 shown]
	ds_write_b128 v0, v[153:156] offset:576
	ds_write_b128 v0, v[140:143] offset:768
	;; [unrolled: 1-line block ×10, first 2 shown]
.LBB0_5:
	s_or_b32 exec_lo, exec_lo, s33
	v_lshlrev_b32_e32 v0, 4, v28
	s_waitcnt vmcnt(0) lgkmcnt(0)
	s_waitcnt_vscnt null, 0x0
	s_barrier
	buffer_gl0_inv
	s_mov_b32 s5, 0x3febb67a
	v_add_co_u32 v136, s0, s12, v0
	v_add_co_ci_u32_e64 v137, null, s13, 0, s0
	v_add_co_u32 v0, s0, 0x800, v136
	v_add_co_ci_u32_e64 v1, s0, 0, v137, s0
	global_load_dwordx4 v[138:141], v[0:1], off offset:448
	v_add_co_u32 v0, s0, 0x9c0, v136
	v_add_co_ci_u32_e64 v1, s0, 0, v137, s0
	global_load_dwordx4 v[142:145], v[0:1], off offset:832
	ds_read_b128 v[146:149], v255
	ds_read_b128 v[153:156], v255 offset:208
	global_load_dwordx4 v[157:160], v[0:1], off offset:1872
	s_waitcnt vmcnt(2) lgkmcnt(1)
	v_mul_f64 v[2:3], v[148:149], v[140:141]
	v_mul_f64 v[4:5], v[146:147], v[140:141]
	v_fma_f64 v[146:147], v[146:147], v[138:139], -v[2:3]
	v_fma_f64 v[148:149], v[148:149], v[138:139], v[4:5]
	ds_read_b128 v[138:141], v255 offset:832
	ds_read_b128 v[161:164], v255 offset:1040
	global_load_dwordx4 v[165:168], v[0:1], off offset:624
	s_waitcnt vmcnt(2) lgkmcnt(1)
	v_mul_f64 v[2:3], v[140:141], v[144:145]
	v_mul_f64 v[4:5], v[138:139], v[144:145]
	v_fma_f64 v[138:139], v[138:139], v[142:143], -v[2:3]
	v_fma_f64 v[140:141], v[140:141], v[142:143], v[4:5]
	global_load_dwordx4 v[142:145], v[0:1], off offset:1664
	ds_read_b128 v[169:172], v255 offset:1664
	ds_read_b128 v[173:176], v255 offset:1872
	global_load_dwordx4 v[177:180], v[0:1], off offset:1456
	s_waitcnt vmcnt(1) lgkmcnt(1)
	v_mul_f64 v[2:3], v[171:172], v[144:145]
	v_mul_f64 v[4:5], v[169:170], v[144:145]
	v_fma_f64 v[169:170], v[169:170], v[142:143], -v[2:3]
	v_fma_f64 v[171:172], v[171:172], v[142:143], v[4:5]
	s_clause 0x1
	global_load_dwordx4 v[142:145], v[0:1], off offset:208
	global_load_dwordx4 v[181:184], v[0:1], off offset:416
	s_waitcnt vmcnt(1)
	v_mul_f64 v[2:3], v[155:156], v[144:145]
	v_mul_f64 v[4:5], v[153:154], v[144:145]
	v_fma_f64 v[153:154], v[153:154], v[142:143], -v[2:3]
	v_fma_f64 v[155:156], v[155:156], v[142:143], v[4:5]
	s_clause 0x1
	global_load_dwordx4 v[142:145], v[0:1], off offset:1040
	global_load_dwordx4 v[185:188], v[0:1], off offset:1248
	s_waitcnt vmcnt(1)
	v_mul_f64 v[0:1], v[163:164], v[144:145]
	v_mul_f64 v[2:3], v[161:162], v[144:145]
	v_fma_f64 v[161:162], v[161:162], v[142:143], -v[0:1]
	v_fma_f64 v[163:164], v[163:164], v[142:143], v[2:3]
	s_waitcnt lgkmcnt(0)
	v_mul_f64 v[0:1], v[175:176], v[159:160]
	v_mul_f64 v[2:3], v[173:174], v[159:160]
	v_fma_f64 v[142:143], v[173:174], v[157:158], -v[0:1]
	v_fma_f64 v[144:145], v[175:176], v[157:158], v[2:3]
	ds_read_b128 v[157:160], v255 offset:416
	ds_read_b128 v[173:176], v255 offset:624
	s_waitcnt lgkmcnt(1)
	v_mul_f64 v[0:1], v[159:160], v[183:184]
	v_mul_f64 v[2:3], v[157:158], v[183:184]
	v_fma_f64 v[157:158], v[157:158], v[181:182], -v[0:1]
	v_fma_f64 v[159:160], v[159:160], v[181:182], v[2:3]
	ds_read_b128 v[181:184], v255 offset:1248
	ds_read_b128 v[189:192], v255 offset:1456
	s_waitcnt vmcnt(0) lgkmcnt(1)
	v_mul_f64 v[0:1], v[183:184], v[187:188]
	v_mul_f64 v[2:3], v[181:182], v[187:188]
	v_fma_f64 v[181:182], v[181:182], v[185:186], -v[0:1]
	v_add_co_u32 v0, s0, 0x1000, v136
	v_add_co_ci_u32_e64 v1, s0, 0, v137, s0
	v_fma_f64 v[183:184], v[183:184], v[185:186], v[2:3]
	s_clause 0x1
	global_load_dwordx4 v[185:188], v[0:1], off offset:480
	global_load_dwordx4 v[193:196], v[0:1], off offset:688
	ds_read_b128 v[197:200], v255 offset:2080
	ds_read_b128 v[201:204], v255 offset:2288
	s_mov_b32 s0, 0xe8584caa
	s_mov_b32 s1, 0xbfebb67a
	;; [unrolled: 1-line block ×3, first 2 shown]
	s_waitcnt vmcnt(1) lgkmcnt(1)
	v_mul_f64 v[0:1], v[199:200], v[187:188]
	v_mul_f64 v[2:3], v[197:198], v[187:188]
	v_fma_f64 v[197:198], v[197:198], v[185:186], -v[0:1]
	v_fma_f64 v[199:200], v[199:200], v[185:186], v[2:3]
	v_mul_f64 v[0:1], v[175:176], v[167:168]
	v_mul_f64 v[2:3], v[173:174], v[167:168]
	v_fma_f64 v[173:174], v[173:174], v[165:166], -v[0:1]
	v_fma_f64 v[175:176], v[175:176], v[165:166], v[2:3]
	;; [unrolled: 4-line block ×3, first 2 shown]
	s_waitcnt vmcnt(0) lgkmcnt(0)
	v_mul_f64 v[0:1], v[203:204], v[195:196]
	v_mul_f64 v[2:3], v[201:202], v[195:196]
	v_fma_f64 v[177:178], v[201:202], v[193:194], -v[0:1]
	v_fma_f64 v[179:180], v[203:204], v[193:194], v[2:3]
	ds_write_b128 v255, v[146:149]
	ds_write_b128 v255, v[138:141] offset:832
	ds_write_b128 v255, v[169:172] offset:1664
	;; [unrolled: 1-line block ×11, first 2 shown]
	s_waitcnt lgkmcnt(0)
	s_barrier
	buffer_gl0_inv
	ds_read_b128 v[136:139], v255
	ds_read_b128 v[140:143], v255 offset:832
	ds_read_b128 v[144:147], v255 offset:1664
	;; [unrolled: 1-line block ×5, first 2 shown]
	s_waitcnt lgkmcnt(4)
	v_add_f64 v[0:1], v[136:137], v[140:141]
	v_add_f64 v[2:3], v[138:139], v[142:143]
	s_waitcnt lgkmcnt(3)
	v_add_f64 v[4:5], v[140:141], v[144:145]
	v_add_f64 v[6:7], v[142:143], v[146:147]
	v_add_f64 v[8:9], v[142:143], -v[146:147]
	v_add_f64 v[10:11], v[140:141], -v[144:145]
	s_waitcnt lgkmcnt(0)
	v_add_f64 v[12:13], v[148:149], v[157:158]
	v_add_f64 v[14:15], v[150:151], v[159:160]
	v_add_f64 v[16:17], v[150:151], -v[159:160]
	v_add_f64 v[18:19], v[148:149], -v[157:158]
	v_add_f64 v[140:141], v[0:1], v[144:145]
	v_add_f64 v[142:143], v[2:3], v[146:147]
	;; [unrolled: 1-line block ×6, first 2 shown]
	ds_read_b128 v[148:151], v255 offset:416
	ds_read_b128 v[157:160], v255 offset:1248
	;; [unrolled: 1-line block ×6, first 2 shown]
	s_waitcnt lgkmcnt(0)
	s_barrier
	buffer_gl0_inv
	v_add_f64 v[0:1], v[148:149], v[157:158]
	v_add_f64 v[2:3], v[150:151], v[159:160]
	;; [unrolled: 1-line block ×4, first 2 shown]
	v_add_f64 v[24:25], v[159:160], -v[171:172]
	v_add_f64 v[26:27], v[157:158], -v[169:170]
	v_add_f64 v[177:178], v[161:162], v[173:174]
	v_add_f64 v[179:180], v[163:164], v[175:176]
	v_add_f64 v[181:182], v[163:164], -v[175:176]
	v_add_f64 v[183:184], v[161:162], -v[173:174]
	v_add_f64 v[157:158], v[0:1], v[169:170]
	v_add_f64 v[159:160], v[2:3], v[171:172]
	v_add_f64 v[0:1], v[165:166], v[161:162]
	v_add_f64 v[2:3], v[167:168], v[163:164]
	v_add_f64 v[161:162], v[0:1], v[173:174]
	v_add_f64 v[163:164], v[2:3], v[175:176]
	v_fma_f64 v[0:1], v[4:5], -0.5, v[136:137]
	v_fma_f64 v[2:3], v[6:7], -0.5, v[138:139]
	;; [unrolled: 1-line block ×4, first 2 shown]
	v_fma_f64 v[136:137], v[8:9], s[0:1], v[0:1]
	v_fma_f64 v[169:170], v[8:9], s[4:5], v[0:1]
	;; [unrolled: 1-line block ×4, first 2 shown]
	v_fma_f64 v[0:1], v[12:13], -0.5, v[153:154]
	v_fma_f64 v[2:3], v[14:15], -0.5, v[155:156]
	v_fma_f64 v[8:9], v[177:178], -0.5, v[165:166]
	v_fma_f64 v[10:11], v[179:180], -0.5, v[167:168]
	ds_write_b128 v40, v[140:143]
	ds_write_b128 v40, v[136:139] offset:16
	ds_write_b128 v40, v[169:172] offset:32
	v_fma_f64 v[148:149], v[24:25], s[0:1], v[4:5]
	v_fma_f64 v[150:151], v[26:27], s[4:5], v[6:7]
	;; [unrolled: 1-line block ×12, first 2 shown]
	ds_write_b128 v35, v[144:147]
	ds_write_b128 v35, v[136:139] offset:16
	ds_write_b128 v35, v[140:143] offset:32
	ds_write_b128 v34, v[157:160]
	ds_write_b128 v34, v[148:151] offset:16
	ds_write_b128 v34, v[153:156] offset:32
	;; [unrolled: 3-line block ×3, first 2 shown]
	s_waitcnt lgkmcnt(0)
	s_barrier
	buffer_gl0_inv
	ds_read_b128 v[136:139], v255 offset:624
	ds_read_b128 v[140:143], v255 offset:416
	;; [unrolled: 1-line block ×6, first 2 shown]
	s_waitcnt lgkmcnt(5)
	v_mul_f64 v[0:1], v[90:91], v[138:139]
	v_mul_f64 v[2:3], v[90:91], v[136:137]
	s_waitcnt lgkmcnt(3)
	v_mul_f64 v[4:5], v[86:87], v[146:147]
	v_mul_f64 v[6:7], v[86:87], v[144:145]
	;; [unrolled: 3-line block ×4, first 2 shown]
	v_fma_f64 v[0:1], v[88:89], v[136:137], v[0:1]
	v_fma_f64 v[2:3], v[88:89], v[138:139], -v[2:3]
	ds_read_b128 v[136:139], v255 offset:2080
	ds_read_b128 v[86:89], v255 offset:832
	v_fma_f64 v[4:5], v[84:85], v[144:145], v[4:5]
	v_fma_f64 v[6:7], v[84:85], v[146:147], -v[6:7]
	ds_read_b128 v[82:85], v255 offset:1040
	v_fma_f64 v[8:9], v[80:81], v[148:149], v[8:9]
	v_fma_f64 v[10:11], v[80:81], v[150:151], -v[10:11]
	s_waitcnt lgkmcnt(3)
	v_mul_f64 v[62:63], v[66:67], v[159:160]
	v_mul_f64 v[66:67], v[66:67], v[157:158]
	v_fma_f64 v[16:17], v[60:61], v[153:154], v[16:17]
	v_fma_f64 v[18:19], v[60:61], v[155:156], -v[18:19]
	s_waitcnt lgkmcnt(2)
	v_mul_f64 v[20:21], v[54:55], v[138:139]
	s_waitcnt lgkmcnt(1)
	v_mul_f64 v[12:13], v[74:75], v[88:89]
	v_mul_f64 v[14:15], v[74:75], v[86:87]
	;; [unrolled: 1-line block ×3, first 2 shown]
	s_waitcnt lgkmcnt(0)
	v_mul_f64 v[24:25], v[70:71], v[84:85]
	v_mul_f64 v[26:27], v[70:71], v[82:83]
	v_add_f64 v[8:9], v[0:1], -v[8:9]
	v_add_f64 v[10:11], v[2:3], -v[10:11]
	v_fma_f64 v[62:63], v[64:65], v[157:158], v[62:63]
	v_fma_f64 v[64:65], v[64:65], v[159:160], -v[66:67]
	v_fma_f64 v[20:21], v[52:53], v[136:137], v[20:21]
	v_fma_f64 v[12:13], v[72:73], v[86:87], v[12:13]
	v_fma_f64 v[14:15], v[72:73], v[88:89], -v[14:15]
	ds_read_b128 v[72:75], v255 offset:2288
	v_fma_f64 v[22:23], v[52:53], v[138:139], -v[22:23]
	v_fma_f64 v[24:25], v[68:69], v[82:83], v[24:25]
	v_fma_f64 v[26:27], v[68:69], v[84:85], -v[26:27]
	ds_read_b128 v[52:55], v255
	v_fma_f64 v[0:1], v[0:1], 2.0, -v[8:9]
	v_fma_f64 v[2:3], v[2:3], 2.0, -v[10:11]
	v_add_f64 v[82:83], v[142:143], -v[64:65]
	s_waitcnt lgkmcnt(1)
	v_mul_f64 v[70:71], v[58:59], v[74:75]
	v_mul_f64 v[80:81], v[58:59], v[72:73]
	ds_read_b128 v[58:61], v255 offset:208
	v_add_f64 v[20:21], v[12:13], -v[20:21]
	s_waitcnt lgkmcnt(1)
	v_add_f64 v[4:5], v[52:53], -v[4:5]
	v_add_f64 v[6:7], v[54:55], -v[6:7]
	;; [unrolled: 1-line block ×3, first 2 shown]
	s_waitcnt lgkmcnt(0)
	s_barrier
	v_fma_f64 v[148:149], v[142:143], 2.0, -v[82:83]
	buffer_gl0_inv
	v_fma_f64 v[66:67], v[56:57], v[72:73], v[70:71]
	v_fma_f64 v[56:57], v[56:57], v[74:75], -v[80:81]
	v_add_f64 v[16:17], v[58:59], -v[16:17]
	v_add_f64 v[18:19], v[60:61], -v[18:19]
	;; [unrolled: 1-line block ×3, first 2 shown]
	v_fma_f64 v[52:53], v[52:53], 2.0, -v[4:5]
	v_fma_f64 v[54:55], v[54:55], 2.0, -v[6:7]
	;; [unrolled: 1-line block ×4, first 2 shown]
	v_add_f64 v[84:85], v[4:5], v[10:11]
	v_add_f64 v[86:87], v[6:7], -v[8:9]
	v_add_f64 v[64:65], v[24:25], -v[66:67]
	;; [unrolled: 1-line block ×3, first 2 shown]
	v_fma_f64 v[68:69], v[58:59], 2.0, -v[16:17]
	v_fma_f64 v[70:71], v[60:61], 2.0, -v[18:19]
	;; [unrolled: 1-line block ×3, first 2 shown]
	v_add_f64 v[60:61], v[16:17], v[22:23]
	v_add_f64 v[88:89], v[52:53], -v[0:1]
	v_add_f64 v[90:91], v[54:55], -v[2:3]
	;; [unrolled: 1-line block ×3, first 2 shown]
	v_fma_f64 v[136:137], v[4:5], 2.0, -v[84:85]
	v_fma_f64 v[138:139], v[6:7], 2.0, -v[86:87]
	;; [unrolled: 1-line block ×4, first 2 shown]
	v_add_f64 v[56:57], v[68:69], -v[12:13]
	v_add_f64 v[58:59], v[70:71], -v[14:15]
	v_add_f64 v[144:145], v[72:73], v[66:67]
	v_add_f64 v[146:147], v[82:83], -v[64:65]
	v_fma_f64 v[64:65], v[16:17], 2.0, -v[60:61]
	v_fma_f64 v[52:53], v[52:53], 2.0, -v[88:89]
	;; [unrolled: 1-line block ×4, first 2 shown]
	v_add_f64 v[140:141], v[74:75], -v[24:25]
	v_add_f64 v[142:143], v[148:149], -v[26:27]
	v_fma_f64 v[68:69], v[68:69], 2.0, -v[56:57]
	v_fma_f64 v[70:71], v[70:71], 2.0, -v[58:59]
	;; [unrolled: 1-line block ×6, first 2 shown]
	ds_write_b128 v33, v[84:87] offset:144
	ds_write_b128 v33, v[136:139] offset:48
	;; [unrolled: 1-line block ×3, first 2 shown]
	ds_write_b128 v33, v[52:55]
	ds_write_b128 v31, v[68:71]
	ds_write_b128 v31, v[64:67] offset:48
	ds_write_b128 v31, v[56:59] offset:96
	;; [unrolled: 1-line block ×3, first 2 shown]
	ds_write_b128 v30, v[72:75]
	ds_write_b128 v30, v[80:83] offset:48
	ds_write_b128 v30, v[140:143] offset:96
	ds_write_b128 v30, v[144:147] offset:144
	s_waitcnt lgkmcnt(0)
	s_barrier
	buffer_gl0_inv
	s_and_saveexec_b32 s0, vcc_lo
	s_cbranch_execz .LBB0_7
; %bb.6:
	ds_read_b128 v[52:55], v255
	ds_read_b128 v[136:139], v255 offset:192
	ds_read_b128 v[88:91], v255 offset:384
	ds_read_b128 v[84:87], v255 offset:576
	ds_read_b128 v[68:71], v255 offset:768
	ds_read_b128 v[64:67], v255 offset:960
	ds_read_b128 v[56:59], v255 offset:1152
	ds_read_b128 v[60:63], v255 offset:1344
	ds_read_b128 v[72:75], v255 offset:1536
	ds_read_b128 v[80:83], v255 offset:1728
	ds_read_b128 v[140:143], v255 offset:1920
	ds_read_b128 v[144:147], v255 offset:2112
	ds_read_b128 v[132:135], v255 offset:2304
.LBB0_7:
	s_or_b32 exec_lo, exec_lo, s0
	s_and_saveexec_b32 s33, vcc_lo
	s_cbranch_execz .LBB0_9
; %bb.8:
	s_waitcnt lgkmcnt(11)
	v_mul_f64 v[0:1], v[43:44], v[138:139]
	v_mul_f64 v[4:5], v[43:44], v[136:137]
	s_clause 0xb
	buffer_load_dword v43, off, s[48:51], 0 offset:144
	buffer_load_dword v44, off, s[48:51], 0 offset:148
	;; [unrolled: 1-line block ×12, first 2 shown]
	s_waitcnt lgkmcnt(0)
	v_mul_f64 v[2:3], v[106:107], v[134:135]
	v_mul_f64 v[6:7], v[106:107], v[132:133]
	;; [unrolled: 1-line block ×14, first 2 shown]
	s_mov_b32 s20, 0x4bc48dbf
	s_mov_b32 s21, 0xbfcea1e5
	;; [unrolled: 1-line block ×3, first 2 shown]
	v_fma_f64 v[122:123], v[41:42], v[136:137], v[0:1]
	v_fma_f64 v[130:131], v[41:42], v[138:139], -v[4:5]
	s_mov_b32 s14, 0x93053d00
	s_mov_b32 s25, 0xbfe5384d
	;; [unrolled: 1-line block ×3, first 2 shown]
	v_fma_f64 v[102:103], v[104:105], v[132:133], v[2:3]
	v_fma_f64 v[104:105], v[104:105], v[134:135], -v[6:7]
	v_mul_f64 v[2:3], v[110:111], v[72:73]
	v_mul_f64 v[110:111], v[126:127], v[140:141]
	v_fma_f64 v[118:119], v[120:121], v[88:89], v[16:17]
	v_fma_f64 v[88:89], v[128:129], v[144:145], v[18:19]
	v_fma_f64 v[120:121], v[120:121], v[90:91], -v[20:21]
	v_fma_f64 v[90:91], v[128:129], v[146:147], -v[22:23]
	s_mov_b32 s26, 0x4267c47c
	s_mov_b32 s15, 0xbfef11f4
	s_mov_b32 s6, 0x66966769
	v_fma_f64 v[126:127], v[116:117], v[84:85], v[48:49]
	s_mov_b32 s16, 0xd0032e0c
	v_fma_f64 v[116:117], v[116:117], v[86:87], -v[106:107]
	s_mov_b32 s12, 0xe00740e9
	s_mov_b32 s7, 0x3fefc445
	;; [unrolled: 1-line block ×4, first 2 shown]
	v_fma_f64 v[138:139], v[112:113], v[60:61], v[10:11]
	v_fma_f64 v[96:97], v[108:109], v[72:73], v[26:27]
	s_mov_b32 s0, 0xebaa3ed8
	s_mov_b32 s28, 0x42a4c3d2
	v_add_f64 v[94:95], v[122:123], -v[102:103]
	v_add_f64 v[114:115], v[130:131], -v[104:105]
	v_add_f64 v[98:99], v[104:105], v[130:131]
	v_fma_f64 v[84:85], v[124:125], v[142:143], -v[110:111]
	v_add_f64 v[86:87], v[102:103], v[122:123]
	v_add_f64 v[110:111], v[118:119], -v[88:89]
	v_fma_f64 v[142:143], v[100:101], v[56:57], v[8:9]
	v_add_f64 v[106:107], v[120:121], -v[90:91]
	v_fma_f64 v[92:93], v[108:109], v[74:75], -v[2:3]
	s_mov_b32 s1, 0x3fbedb7d
	s_mov_b32 s29, 0x3fea55e2
	;; [unrolled: 1-line block ×4, first 2 shown]
	v_fma_f64 v[148:149], v[100:101], v[58:59], -v[12:13]
	v_fma_f64 v[144:145], v[112:113], v[62:63], -v[14:15]
	s_mov_b32 s18, 0x2ef20147
	s_mov_b32 s22, 0x1ea71119
	;; [unrolled: 1-line block ×7, first 2 shown]
	v_mul_f64 v[20:21], v[94:95], s[20:21]
	v_mul_f64 v[22:23], v[114:115], s[20:21]
	;; [unrolled: 1-line block ×3, first 2 shown]
	v_add_f64 v[136:137], v[116:117], -v[84:85]
	v_mul_f64 v[10:11], v[114:115], s[24:25]
	s_mov_b32 s5, 0xbfd6b1d8
	v_add_f64 v[112:113], v[142:143], -v[138:139]
	v_mul_f64 v[26:27], v[106:107], s[6:7]
	v_mul_f64 v[173:174], v[94:95], s[18:19]
	v_mul_f64 v[175:176], v[114:115], s[18:19]
	s_mov_b32 s39, 0x3fe5384d
	s_mov_b32 s38, s24
	;; [unrolled: 1-line block ×4, first 2 shown]
	v_add_f64 v[130:131], v[54:55], v[130:131]
	v_add_f64 v[122:123], v[52:53], v[122:123]
	s_mov_b32 s41, 0x3fedeba7
	s_mov_b32 s40, s18
	v_fma_f64 v[56:57], v[98:99], s[16:17], v[8:9]
	v_mul_f64 v[2:3], v[136:137], s[24:25]
	v_fma_f64 v[72:73], v[86:87], s[16:17], -v[10:11]
	v_mul_f64 v[157:158], v[136:137], s[30:31]
	v_fma_f64 v[8:9], v[98:99], s[16:17], -v[8:9]
	v_fma_f64 v[10:11], v[86:87], s[16:17], v[10:11]
	v_fma_f64 v[187:188], v[86:87], s[4:5], -v[175:176]
	v_fma_f64 v[175:176], v[86:87], s[4:5], v[175:176]
	v_add_f64 v[56:57], v[54:55], v[56:57]
	v_add_f64 v[72:73], v[52:53], v[72:73]
	v_add_f64 v[8:9], v[54:55], v[8:9]
	v_add_f64 v[10:11], v[52:53], v[10:11]
	v_add_f64 v[187:188], v[52:53], v[187:188]
	v_add_f64 v[175:176], v[52:53], v[175:176]
	s_waitcnt vmcnt(8)
	v_mul_f64 v[24:25], v[45:46], v[66:67]
	s_waitcnt vmcnt(4)
	v_mul_f64 v[4:5], v[32:33], v[70:71]
	;; [unrolled: 2-line block ×3, first 2 shown]
	v_mul_f64 v[16:17], v[32:33], v[68:69]
	v_mul_f64 v[18:19], v[78:79], v[80:81]
	v_fma_f64 v[78:79], v[124:125], v[140:141], v[50:51]
	v_mul_f64 v[0:1], v[45:46], v[64:65]
	v_add_f64 v[124:125], v[90:91], v[120:121]
	v_add_f64 v[140:141], v[148:149], -v[144:145]
	v_add_f64 v[120:121], v[120:121], v[130:131]
	v_fma_f64 v[146:147], v[43:44], v[64:65], v[24:25]
	v_fma_f64 v[153:154], v[30:31], v[68:69], v[4:5]
	;; [unrolled: 1-line block ×3, first 2 shown]
	v_fma_f64 v[155:156], v[30:31], v[70:71], -v[16:17]
	v_fma_f64 v[70:71], v[76:77], v[82:83], -v[18:19]
	v_add_f64 v[134:135], v[126:127], -v[78:79]
	v_add_f64 v[82:83], v[88:89], v[118:119]
	v_mul_f64 v[4:5], v[110:111], s[26:27]
	v_mul_f64 v[6:7], v[106:107], s[26:27]
	v_fma_f64 v[16:17], v[98:99], s[14:15], v[20:21]
	v_fma_f64 v[18:19], v[86:87], s[14:15], -v[22:23]
	v_fma_f64 v[20:21], v[98:99], s[14:15], -v[20:21]
	v_fma_f64 v[22:23], v[86:87], s[14:15], v[22:23]
	v_fma_f64 v[150:151], v[43:44], v[66:67], -v[0:1]
	v_add_f64 v[64:65], v[116:117], v[84:85]
	v_add_f64 v[66:67], v[126:127], v[78:79]
	v_mul_f64 v[24:25], v[110:111], s[6:7]
	v_add_f64 v[118:119], v[118:119], v[122:123]
	v_add_f64 v[116:117], v[116:117], v[120:121]
	v_add_f64 v[100:101], v[146:147], -v[96:97]
	v_add_f64 v[80:81], v[96:97], v[146:147]
	v_add_f64 v[128:129], v[153:154], -v[68:69]
	;; [unrolled: 2-line block ×3, first 2 shown]
	v_mul_f64 v[0:1], v[134:135], s[24:25]
	v_add_f64 v[60:61], v[155:156], v[70:71]
	v_fma_f64 v[48:49], v[124:125], s[12:13], v[4:5]
	v_fma_f64 v[50:51], v[82:83], s[12:13], -v[6:7]
	v_fma_f64 v[4:5], v[124:125], s[12:13], -v[4:5]
	v_fma_f64 v[6:7], v[82:83], s[12:13], v[6:7]
	v_add_f64 v[16:17], v[54:55], v[16:17]
	v_add_f64 v[20:21], v[54:55], v[20:21]
	;; [unrolled: 1-line block ×4, first 2 shown]
	v_add_f64 v[108:109], v[150:151], -v[92:93]
	v_mul_f64 v[58:59], v[134:135], s[30:31]
	v_fma_f64 v[159:160], v[66:67], s[16:17], -v[2:3]
	v_fma_f64 v[2:3], v[66:67], s[16:17], v[2:3]
	v_fma_f64 v[161:162], v[124:125], s[0:1], v[24:25]
	v_fma_f64 v[163:164], v[82:83], s[0:1], -v[26:27]
	v_add_f64 v[76:77], v[92:93], v[150:151]
	v_fma_f64 v[171:172], v[66:67], s[22:23], -v[157:158]
	v_fma_f64 v[24:25], v[124:125], s[0:1], -v[24:25]
	v_mul_f64 v[12:13], v[128:129], s[28:29]
	v_mul_f64 v[165:166], v[128:129], s[36:37]
	;; [unrolled: 1-line block ×3, first 2 shown]
	v_fma_f64 v[74:75], v[64:65], s[16:17], v[0:1]
	v_fma_f64 v[0:1], v[64:65], s[16:17], -v[0:1]
	v_mul_f64 v[167:168], v[132:133], s[36:37]
	v_add_f64 v[118:119], v[126:127], v[118:119]
	v_add_f64 v[116:117], v[155:156], v[116:117]
	;; [unrolled: 1-line block ×6, first 2 shown]
	v_mul_f64 v[20:21], v[100:101], s[18:19]
	v_mul_f64 v[22:23], v[108:109], s[18:19]
	v_fma_f64 v[169:170], v[64:65], s[22:23], v[58:59]
	v_add_f64 v[56:57], v[161:162], v[56:57]
	v_add_f64 v[161:162], v[163:164], v[72:73]
	;; [unrolled: 1-line block ×3, first 2 shown]
	v_mul_f64 v[163:164], v[108:109], s[26:27]
	v_add_f64 v[8:9], v[24:25], v[8:9]
	v_fma_f64 v[48:49], v[60:61], s[22:23], v[12:13]
	v_fma_f64 v[12:13], v[60:61], s[22:23], -v[12:13]
	v_fma_f64 v[50:51], v[62:63], s[22:23], -v[14:15]
	v_fma_f64 v[14:15], v[62:63], s[22:23], v[14:15]
	v_fma_f64 v[181:182], v[60:61], s[14:15], v[165:166]
	v_fma_f64 v[183:184], v[62:63], s[14:15], -v[167:168]
	v_mul_f64 v[24:25], v[134:135], s[26:27]
	v_fma_f64 v[167:168], v[62:63], s[14:15], v[167:168]
	v_add_f64 v[118:119], v[153:154], v[118:119]
	v_add_f64 v[16:17], v[74:75], v[16:17]
	;; [unrolled: 1-line block ×6, first 2 shown]
	v_mul_f64 v[4:5], v[112:113], s[6:7]
	v_mul_f64 v[6:7], v[140:141], s[6:7]
	;; [unrolled: 1-line block ×3, first 2 shown]
	v_fma_f64 v[177:178], v[76:77], s[4:5], v[20:21]
	v_fma_f64 v[179:180], v[80:81], s[4:5], -v[22:23]
	v_fma_f64 v[20:21], v[76:77], s[4:5], -v[20:21]
	v_fma_f64 v[22:23], v[80:81], s[4:5], v[22:23]
	v_add_f64 v[56:57], v[169:170], v[56:57]
	v_mul_f64 v[169:170], v[110:111], s[38:39]
	v_add_f64 v[161:162], v[171:172], v[161:162]
	v_mul_f64 v[171:172], v[106:107], s[38:39]
	v_fma_f64 v[191:192], v[80:81], s[12:13], -v[163:164]
	v_add_f64 v[116:117], v[150:151], v[116:117]
	v_mul_f64 v[153:154], v[108:109], s[30:31]
	v_fma_f64 v[163:164], v[80:81], s[12:13], v[163:164]
	v_add_f64 v[118:119], v[146:147], v[118:119]
	v_add_f64 v[16:17], v[48:49], v[16:17]
	;; [unrolled: 1-line block ×5, first 2 shown]
	v_fma_f64 v[50:51], v[98:99], s[4:5], v[173:174]
	v_fma_f64 v[48:49], v[74:75], s[0:1], v[4:5]
	v_fma_f64 v[185:186], v[72:73], s[0:1], -v[6:7]
	v_fma_f64 v[4:5], v[74:75], s[0:1], -v[4:5]
	v_fma_f64 v[6:7], v[72:73], s[0:1], v[6:7]
	v_fma_f64 v[189:190], v[76:77], s[12:13], v[159:160]
	v_fma_f64 v[173:174], v[98:99], s[4:5], -v[173:174]
	v_mul_f64 v[12:13], v[112:113], s[18:19]
	v_add_f64 v[56:57], v[181:182], v[56:57]
	v_mul_f64 v[14:15], v[140:141], s[18:19]
	v_add_f64 v[161:162], v[183:184], v[161:162]
	v_fma_f64 v[193:194], v[82:83], s[16:17], -v[171:172]
	v_fma_f64 v[171:172], v[82:83], s[16:17], v[171:172]
	v_add_f64 v[116:117], v[148:149], v[116:117]
	v_add_f64 v[118:119], v[142:143], v[118:119]
	;; [unrolled: 1-line block ×5, first 2 shown]
	v_fma_f64 v[22:23], v[82:83], s[0:1], v[26:27]
	v_add_f64 v[18:19], v[179:180], v[18:19]
	v_fma_f64 v[26:27], v[64:65], s[22:23], -v[58:59]
	v_fma_f64 v[179:180], v[124:125], s[16:17], v[169:170]
	v_add_f64 v[181:182], v[54:55], v[50:51]
	v_mul_f64 v[177:178], v[136:137], s[26:27]
	v_mul_f64 v[20:21], v[94:95], s[34:35]
	v_fma_f64 v[169:170], v[124:125], s[16:17], -v[169:170]
	v_add_f64 v[173:174], v[54:55], v[173:174]
	v_add_f64 v[189:190], v[189:190], v[56:57]
	v_fma_f64 v[183:184], v[74:75], s[4:5], v[12:13]
	v_add_f64 v[161:162], v[191:192], v[161:162]
	v_mul_f64 v[191:192], v[100:101], s[36:37]
	v_add_f64 v[130:131], v[171:172], v[175:176]
	v_add_f64 v[116:117], v[144:145], v[116:117]
	v_mul_f64 v[144:145], v[128:129], s[38:39]
	v_fma_f64 v[195:196], v[72:73], s[4:5], -v[14:15]
	v_fma_f64 v[12:13], v[74:75], s[4:5], -v[12:13]
	v_add_f64 v[118:119], v[138:139], v[118:119]
	v_add_f64 v[50:51], v[48:49], v[16:17]
	;; [unrolled: 1-line block ×4, first 2 shown]
	v_fma_f64 v[0:1], v[66:67], s[22:23], v[157:158]
	v_add_f64 v[6:7], v[22:23], v[10:11]
	v_mul_f64 v[16:17], v[114:115], s[34:35]
	v_add_f64 v[48:49], v[185:186], v[18:19]
	v_add_f64 v[8:9], v[26:27], v[8:9]
	v_mul_f64 v[18:19], v[128:129], s[34:35]
	v_fma_f64 v[22:23], v[64:65], s[12:13], v[24:25]
	v_add_f64 v[26:27], v[179:180], v[181:182]
	v_fma_f64 v[10:11], v[60:61], s[14:15], -v[165:166]
	v_add_f64 v[179:180], v[193:194], v[187:188]
	v_fma_f64 v[165:166], v[66:67], s[12:13], -v[177:178]
	v_mul_f64 v[2:3], v[110:111], s[20:21]
	v_fma_f64 v[4:5], v[98:99], s[0:1], v[20:21]
	v_mul_f64 v[157:158], v[132:133], s[34:35]
	v_fma_f64 v[24:25], v[64:65], s[12:13], -v[24:25]
	v_add_f64 v[122:123], v[169:170], v[173:174]
	v_mul_f64 v[181:182], v[134:135], s[40:41]
	v_mul_f64 v[169:170], v[128:129], s[26:27]
	v_add_f64 v[92:93], v[92:93], v[116:117]
	v_add_f64 v[96:97], v[96:97], v[118:119]
	v_fma_f64 v[14:15], v[72:73], s[4:5], v[14:15]
	v_add_f64 v[0:1], v[0:1], v[6:7]
	v_fma_f64 v[6:7], v[76:77], s[12:13], -v[159:160]
	v_mul_f64 v[159:160], v[106:107], s[20:21]
	v_fma_f64 v[187:188], v[86:87], s[0:1], -v[16:17]
	v_fma_f64 v[193:194], v[60:61], s[0:1], v[18:19]
	v_fma_f64 v[18:19], v[60:61], s[0:1], -v[18:19]
	v_add_f64 v[22:23], v[22:23], v[26:27]
	v_add_f64 v[8:9], v[10:11], v[8:9]
	v_fma_f64 v[10:11], v[98:99], s[0:1], -v[20:21]
	v_fma_f64 v[20:21], v[66:67], s[12:13], v[177:178]
	v_add_f64 v[165:166], v[165:166], v[179:180]
	v_fma_f64 v[179:180], v[76:77], s[14:15], v[191:192]
	v_fma_f64 v[185:186], v[124:125], s[14:15], v[2:3]
	v_fma_f64 v[197:198], v[62:63], s[0:1], -v[157:158]
	v_add_f64 v[24:25], v[24:25], v[122:123]
	v_fma_f64 v[2:3], v[124:125], s[14:15], -v[2:3]
	v_fma_f64 v[120:121], v[62:63], s[0:1], v[157:158]
	v_add_f64 v[4:5], v[54:55], v[4:5]
	v_fma_f64 v[16:17], v[86:87], s[0:1], v[16:17]
	v_mul_f64 v[26:27], v[108:109], s[36:37]
	v_fma_f64 v[171:172], v[64:65], s[4:5], v[181:182]
	v_fma_f64 v[126:127], v[60:61], s[12:13], v[169:170]
	v_add_f64 v[0:1], v[167:168], v[0:1]
	v_mul_f64 v[167:168], v[136:137], s[40:41]
	v_fma_f64 v[173:174], v[82:83], s[14:15], -v[159:160]
	v_add_f64 v[175:176], v[52:53], v[187:188]
	v_fma_f64 v[169:170], v[60:61], s[12:13], -v[169:170]
	v_fma_f64 v[150:151], v[82:83], s[14:15], v[159:160]
	v_add_f64 v[22:23], v[193:194], v[22:23]
	v_add_f64 v[6:7], v[6:7], v[8:9]
	v_add_f64 v[10:11], v[54:55], v[10:11]
	v_add_f64 v[20:21], v[20:21], v[130:131]
	v_mul_f64 v[8:9], v[132:133], s[26:27]
	v_add_f64 v[70:71], v[70:71], v[92:93]
	v_add_f64 v[68:69], v[68:69], v[96:97]
	;; [unrolled: 1-line block ×4, first 2 shown]
	v_fma_f64 v[24:25], v[64:65], s[4:5], -v[181:182]
	v_mul_f64 v[122:123], v[100:101], s[30:31]
	v_add_f64 v[4:5], v[185:186], v[4:5]
	v_mul_f64 v[185:186], v[140:141], s[28:29]
	v_add_f64 v[16:17], v[52:53], v[16:17]
	v_fma_f64 v[187:188], v[80:81], s[14:15], -v[26:27]
	v_mul_f64 v[177:178], v[112:113], s[28:29]
	v_fma_f64 v[159:160], v[80:81], s[22:23], -v[153:154]
	v_fma_f64 v[130:131], v[66:67], s[4:5], -v[167:168]
	v_fma_f64 v[167:168], v[66:67], s[4:5], v[167:168]
	v_add_f64 v[157:158], v[173:174], v[175:176]
	v_mul_f64 v[175:176], v[112:113], s[26:27]
	v_fma_f64 v[173:174], v[76:77], s[14:15], -v[191:192]
	v_add_f64 v[22:23], v[179:180], v[22:23]
	v_mul_f64 v[179:180], v[140:141], s[26:27]
	s_mov_b32 s27, 0xbfddbe06
	v_add_f64 v[2:3], v[2:3], v[10:11]
	v_fma_f64 v[155:156], v[62:63], s[12:13], -v[8:9]
	v_mul_f64 v[146:147], v[114:115], s[26:27]
	v_mul_f64 v[114:115], v[114:115], s[30:31]
	v_fma_f64 v[8:9], v[62:63], s[12:13], v[8:9]
	v_fma_f64 v[10:11], v[80:81], s[14:15], v[26:27]
	v_add_f64 v[20:21], v[120:121], v[20:21]
	v_mul_f64 v[26:27], v[112:113], s[24:25]
	v_add_f64 v[4:5], v[171:172], v[4:5]
	v_fma_f64 v[171:172], v[72:73], s[22:23], -v[185:186]
	v_add_f64 v[16:17], v[150:151], v[16:17]
	v_mul_f64 v[150:151], v[134:135], s[20:21]
	v_add_f64 v[165:166], v[187:188], v[165:166]
	v_mul_f64 v[134:135], v[134:135], s[34:35]
	v_add_f64 v[70:71], v[84:85], v[70:71]
	v_add_f64 v[68:69], v[78:79], v[68:69]
	;; [unrolled: 1-line block ×3, first 2 shown]
	v_mul_f64 v[157:158], v[94:95], s[30:31]
	v_mul_f64 v[94:95], v[94:95], s[26:27]
	v_add_f64 v[18:19], v[173:174], v[18:19]
	v_mul_f64 v[173:174], v[110:111], s[18:19]
	v_mul_f64 v[110:111], v[110:111], s[30:31]
	v_add_f64 v[2:3], v[24:25], v[2:3]
	v_fma_f64 v[24:25], v[72:73], s[22:23], v[185:186]
	v_mul_f64 v[185:186], v[106:107], s[18:19]
	v_mul_f64 v[106:107], v[106:107], s[30:31]
	v_fma_f64 v[142:143], v[86:87], s[12:13], v[146:147]
	v_fma_f64 v[148:149], v[86:87], s[22:23], v[114:115]
	v_fma_f64 v[114:115], v[86:87], s[22:23], -v[114:115]
	v_fma_f64 v[86:87], v[86:87], s[12:13], -v[146:147]
	v_fma_f64 v[120:121], v[76:77], s[22:23], v[122:123]
	v_add_f64 v[4:5], v[126:127], v[4:5]
	v_add_f64 v[16:17], v[167:168], v[16:17]
	v_mul_f64 v[126:127], v[140:141], s[24:25]
	v_fma_f64 v[122:123], v[76:77], s[22:23], -v[122:123]
	v_add_f64 v[10:11], v[10:11], v[20:21]
	v_fma_f64 v[20:21], v[74:75], s[16:17], v[26:27]
	v_add_f64 v[90:91], v[90:91], v[70:71]
	v_add_f64 v[130:131], v[155:156], v[130:131]
	v_fma_f64 v[181:182], v[98:99], s[22:23], -v[157:158]
	v_fma_f64 v[155:156], v[98:99], s[12:13], -v[94:95]
	v_fma_f64 v[157:158], v[98:99], s[22:23], v[157:158]
	v_fma_f64 v[94:95], v[98:99], s[12:13], v[94:95]
	v_fma_f64 v[146:147], v[124:125], s[4:5], -v[173:174]
	v_add_f64 v[2:3], v[169:170], v[2:3]
	v_mul_f64 v[98:99], v[136:137], s[20:21]
	v_mul_f64 v[136:137], v[136:137], s[34:35]
	v_fma_f64 v[187:188], v[124:125], s[22:23], -v[110:111]
	v_fma_f64 v[191:192], v[82:83], s[22:23], v[106:107]
	v_add_f64 v[138:139], v[52:53], v[142:143]
	v_add_f64 v[142:143], v[52:53], v[148:149]
	v_fma_f64 v[148:149], v[124:125], s[4:5], v[173:174]
	v_add_f64 v[114:115], v[52:53], v[114:115]
	v_fma_f64 v[110:111], v[124:125], s[22:23], v[110:111]
	v_add_f64 v[52:53], v[52:53], v[86:87]
	v_fma_f64 v[86:87], v[64:65], s[14:15], -v[150:151]
	v_mul_f64 v[173:174], v[132:133], s[38:39]
	v_mul_f64 v[124:125], v[128:129], s[18:19]
	v_mul_f64 v[128:129], v[132:133], s[18:19]
	v_fma_f64 v[132:133], v[64:65], s[0:1], -v[134:135]
	v_add_f64 v[8:9], v[8:9], v[16:17]
	v_add_f64 v[169:170], v[54:55], v[181:182]
	;; [unrolled: 1-line block ×3, first 2 shown]
	v_fma_f64 v[181:182], v[82:83], s[4:5], v[185:186]
	v_add_f64 v[157:158], v[54:55], v[157:158]
	v_fma_f64 v[185:186], v[82:83], s[4:5], -v[185:186]
	v_add_f64 v[54:55], v[54:55], v[94:95]
	v_fma_f64 v[82:83], v[82:83], s[22:23], -v[106:107]
	v_fma_f64 v[106:107], v[66:67], s[14:15], v[98:99]
	v_fma_f64 v[98:99], v[66:67], s[14:15], -v[98:99]
	v_fma_f64 v[16:17], v[74:75], s[16:17], -v[26:27]
	v_add_f64 v[116:117], v[191:192], v[138:139]
	v_mul_f64 v[138:139], v[100:101], s[6:7]
	v_mul_f64 v[100:101], v[100:101], s[24:25]
	v_add_f64 v[68:69], v[88:89], v[68:69]
	v_add_f64 v[2:3], v[122:123], v[2:3]
	;; [unrolled: 1-line block ×3, first 2 shown]
	v_fma_f64 v[163:164], v[74:75], s[22:23], v[177:178]
	v_fma_f64 v[177:178], v[74:75], s[22:23], -v[177:178]
	v_add_f64 v[4:5], v[120:121], v[4:5]
	v_fma_f64 v[120:121], v[72:73], s[16:17], -v[126:127]
	v_add_f64 v[94:95], v[146:147], v[169:170]
	v_add_f64 v[146:147], v[187:188], v[155:156]
	v_fma_f64 v[155:156], v[66:67], s[0:1], v[136:137]
	v_add_f64 v[118:119], v[181:182], v[142:143]
	v_fma_f64 v[142:143], v[64:65], s[14:15], v[150:151]
	v_add_f64 v[148:149], v[148:149], v[157:158]
	v_add_f64 v[114:115], v[185:186], v[114:115]
	v_fma_f64 v[64:65], v[64:65], s[0:1], v[134:135]
	v_add_f64 v[54:55], v[110:111], v[54:55]
	v_fma_f64 v[66:67], v[66:67], s[0:1], -v[136:137]
	v_add_f64 v[52:53], v[82:83], v[52:53]
	v_fma_f64 v[82:83], v[60:61], s[16:17], -v[144:145]
	v_mul_f64 v[150:151], v[108:109], s[6:7]
	v_mul_f64 v[108:109], v[108:109], s[24:25]
	v_fma_f64 v[110:111], v[60:61], s[4:5], -v[124:125]
	v_fma_f64 v[134:135], v[62:63], s[4:5], v[128:129]
	v_fma_f64 v[136:137], v[62:63], s[16:17], -v[173:174]
	v_fma_f64 v[26:27], v[76:77], s[0:1], v[138:139]
	v_add_f64 v[70:71], v[16:17], v[2:3]
	v_add_f64 v[86:87], v[86:87], v[94:95]
	;; [unrolled: 1-line block ×4, first 2 shown]
	v_fma_f64 v[94:95], v[62:63], s[16:17], v[173:174]
	v_add_f64 v[96:97], v[106:107], v[118:119]
	v_fma_f64 v[116:117], v[60:61], s[16:17], v[144:145]
	v_add_f64 v[118:119], v[142:143], v[148:149]
	v_add_f64 v[98:99], v[98:99], v[114:115]
	v_fma_f64 v[60:61], v[60:61], s[4:5], v[124:125]
	v_add_f64 v[54:55], v[64:65], v[54:55]
	v_fma_f64 v[62:63], v[62:63], s[4:5], -v[128:129]
	v_add_f64 v[52:53], v[66:67], v[52:53]
	v_fma_f64 v[64:65], v[76:77], s[0:1], -v[138:139]
	v_fma_f64 v[114:115], v[76:77], s[16:17], -v[100:101]
	v_fma_f64 v[124:125], v[80:81], s[16:17], v[108:109]
	v_fma_f64 v[106:107], v[80:81], s[22:23], v[153:154]
	;; [unrolled: 1-line block ×4, first 2 shown]
	v_add_f64 v[66:67], v[82:83], v[86:87]
	v_mul_f64 v[86:87], v[112:113], s[20:21]
	v_mul_f64 v[112:113], v[140:141], s[20:21]
	v_add_f64 v[110:111], v[110:111], v[132:133]
	v_add_f64 v[78:79], v[134:135], v[92:93]
	v_fma_f64 v[82:83], v[80:81], s[0:1], v[150:151]
	v_add_f64 v[84:85], v[94:95], v[96:97]
	v_add_f64 v[92:93], v[116:117], v[118:119]
	v_fma_f64 v[94:95], v[80:81], s[0:1], -v[150:151]
	v_add_f64 v[96:97], v[136:137], v[98:99]
	v_add_f64 v[54:55], v[60:61], v[54:55]
	v_fma_f64 v[60:61], v[80:81], s[16:17], -v[108:109]
	v_add_f64 v[52:53], v[62:63], v[52:53]
	v_fma_f64 v[80:81], v[74:75], s[12:13], -v[175:176]
	v_fma_f64 v[98:99], v[72:73], s[16:17], v[126:127]
	v_add_f64 v[8:9], v[106:107], v[8:9]
	v_add_f64 v[106:107], v[159:160], v[130:131]
	v_fma_f64 v[116:117], v[74:75], s[12:13], v[175:176]
	v_add_f64 v[62:63], v[12:13], v[6:7]
	v_add_f64 v[64:65], v[64:65], v[66:67]
	v_fma_f64 v[108:109], v[74:75], s[14:15], -v[86:87]
	v_fma_f64 v[118:119], v[74:75], s[14:15], v[86:87]
	v_add_f64 v[110:111], v[114:115], v[110:111]
	v_fma_f64 v[114:115], v[72:73], s[14:15], v[112:113]
	v_add_f64 v[88:89], v[124:125], v[78:79]
	v_add_f64 v[84:85], v[82:83], v[84:85]
	;; [unrolled: 1-line block ×3, first 2 shown]
	v_fma_f64 v[92:93], v[72:73], s[12:13], -v[179:180]
	v_add_f64 v[96:97], v[94:95], v[96:97]
	v_add_f64 v[122:123], v[76:77], v[54:55]
	v_fma_f64 v[112:113], v[72:73], s[14:15], -v[112:113]
	v_add_f64 v[124:125], v[60:61], v[52:53]
	v_add_f64 v[82:83], v[104:105], v[90:91]
	;; [unrolled: 1-line block ×8, first 2 shown]
	v_lshl_add_u32 v0, v28, 4, v29
	v_add_f64 v[74:75], v[80:81], v[64:65]
	v_add_f64 v[80:81], v[102:103], v[68:69]
	;; [unrolled: 1-line block ×13, first 2 shown]
	ds_write_b128 v255, v[80:83]
	ds_write_b128 v0, v[76:79] offset:192
	ds_write_b128 v0, v[72:75] offset:384
	;; [unrolled: 1-line block ×12, first 2 shown]
.LBB0_9:
	s_or_b32 exec_lo, exec_lo, s33
	s_waitcnt lgkmcnt(0)
	s_barrier
	buffer_gl0_inv
	ds_read_b128 v[48:51], v255
	ds_read_b128 v[52:55], v255 offset:832
	ds_read_b128 v[56:59], v255 offset:208
	;; [unrolled: 1-line block ×4, first 2 shown]
	s_clause 0x3
	buffer_load_dword v13, off, s[48:51], 0 offset:80
	buffer_load_dword v14, off, s[48:51], 0 offset:84
	;; [unrolled: 1-line block ×4, first 2 shown]
	v_mad_u64_u32 v[10:11], null, s8, v28, 0
	s_mov_b32 s0, 0x1a41a41a
	s_mov_b32 s1, 0x3f7a41a4
                                        ; kill: def $vgpr12 killed $sgpr0 killed $exec
	ds_read_b128 v[68:71], v255 offset:1872
	v_mad_u64_u32 v[0:1], null, s10, v152, 0
	s_mul_i32 s5, s9, 0x340
	v_mad_u64_u32 v[11:12], null, s9, v28, v[11:12]
	s_clause 0x3
	buffer_load_dword v27, off, s[48:51], 0
	buffer_load_dword v28, off, s[48:51], 0 offset:4
	buffer_load_dword v29, off, s[48:51], 0 offset:8
	;; [unrolled: 1-line block ×3, first 2 shown]
	s_mul_hi_u32 s6, s8, 0x340
	s_mul_i32 s4, s8, 0x340
	s_add_i32 s6, s6, s5
	s_mul_hi_u32 s10, s8, 0xfffffa50
	s_mul_i32 s7, s9, 0xfffffa50
	s_waitcnt lgkmcnt(5)
	v_mul_f64 v[2:3], v[38:39], v[50:51]
	v_mul_f64 v[4:5], v[38:39], v[48:49]
	s_waitcnt lgkmcnt(3)
	v_mul_f64 v[21:22], v[239:240], v[58:59]
	v_lshlrev_b64 v[10:11], 4, v[10:11]
	v_mul_f64 v[23:24], v[239:240], v[56:57]
	s_waitcnt lgkmcnt(2)
	v_mul_f64 v[25:26], v[243:244], v[62:63]
	s_sub_i32 s9, s10, s8
	s_add_i32 s9, s9, s7
	v_fma_f64 v[4:5], v[36:37], v[50:51], -v[4:5]
	s_waitcnt vmcnt(4)
	v_mul_f64 v[6:7], v[15:16], v[54:55]
	v_mul_f64 v[8:9], v[15:16], v[52:53]
	v_mad_u64_u32 v[16:17], null, s11, v152, v[1:2]
	v_fma_f64 v[2:3], v[36:37], v[48:49], v[2:3]
	v_mov_b32_e32 v1, v16
	s_waitcnt vmcnt(0) lgkmcnt(1)
	v_mul_f64 v[17:18], v[29:30], v[66:67]
	v_mul_f64 v[19:20], v[29:30], v[64:65]
	v_lshlrev_b64 v[80:81], 4, v[0:1]
	v_fma_f64 v[6:7], v[13:14], v[52:53], v[6:7]
	v_fma_f64 v[8:9], v[13:14], v[54:55], -v[8:9]
	ds_read_b128 v[12:15], v255 offset:416
	ds_read_b128 v[36:39], v255 offset:624
	;; [unrolled: 1-line block ×6, first 2 shown]
	v_mul_f64 v[0:1], v[2:3], s[0:1]
	v_mul_f64 v[2:3], v[4:5], s[0:1]
	;; [unrolled: 1-line block ×3, first 2 shown]
	v_fma_f64 v[64:65], v[27:28], v[64:65], v[17:18]
	v_fma_f64 v[66:67], v[27:28], v[66:67], -v[19:20]
	v_fma_f64 v[20:21], v[237:238], v[56:57], v[21:22]
	v_fma_f64 v[22:23], v[237:238], v[58:59], -v[23:24]
	v_mul_f64 v[16:17], v[6:7], s[0:1]
	v_add_co_u32 v6, vcc_lo, s2, v80
	v_mul_f64 v[18:19], v[8:9], s[0:1]
	v_add_co_ci_u32_e32 v7, vcc_lo, s3, v81, vcc_lo
	s_waitcnt lgkmcnt(6)
	v_mul_f64 v[8:9], v[247:248], v[70:71]
	v_mul_f64 v[80:81], v[247:248], v[68:69]
	v_add_co_u32 v6, vcc_lo, v6, v10
	v_add_co_ci_u32_e32 v7, vcc_lo, v7, v11, vcc_lo
	v_mul_f64 v[56:57], v[64:65], s[0:1]
	v_add_co_u32 v10, vcc_lo, v6, s4
	v_add_co_ci_u32_e32 v11, vcc_lo, s6, v7, vcc_lo
	global_store_dwordx4 v[6:7], v[0:3], off
	global_store_dwordx4 v[10:11], v[16:19], off
	s_clause 0x7
	buffer_load_dword v32, off, s[48:51], 0 offset:32
	buffer_load_dword v33, off, s[48:51], 0 offset:36
	;; [unrolled: 1-line block ×8, first 2 shown]
	v_mul_f64 v[64:65], v[20:21], s[0:1]
	v_fma_f64 v[8:9], v[245:246], v[68:69], v[8:9]
	v_fma_f64 v[20:21], v[245:246], v[70:71], -v[80:81]
	s_clause 0xf
	buffer_load_dword v68, off, s[48:51], 0 offset:64
	buffer_load_dword v69, off, s[48:51], 0 offset:68
	;; [unrolled: 1-line block ×16, first 2 shown]
	v_fma_f64 v[2:3], v[241:242], v[62:63], -v[4:5]
	v_mul_f64 v[58:59], v[66:67], s[0:1]
	v_mul_f64 v[66:67], v[22:23], s[0:1]
	v_fma_f64 v[0:1], v[241:242], v[60:61], v[25:26]
	v_add_co_u32 v82, vcc_lo, v10, s4
	v_add_co_ci_u32_e32 v83, vcc_lo, s6, v11, vcc_lo
	s_mul_i32 s2, s8, 0xfffffa50
	v_add_co_u32 v10, vcc_lo, v82, s2
	v_add_co_ci_u32_e32 v11, vcc_lo, s9, v83, vcc_lo
	global_store_dwordx4 v[82:83], v[56:59], off
	global_store_dwordx4 v[10:11], v[64:67], off
	v_add_co_u32 v56, vcc_lo, v10, s4
	v_add_co_ci_u32_e32 v57, vcc_lo, s6, v11, vcc_lo
	v_mul_f64 v[0:1], v[0:1], s[0:1]
	v_mul_f64 v[2:3], v[2:3], s[0:1]
	global_store_dwordx4 v[56:57], v[0:3], off
	s_waitcnt vmcnt(20) lgkmcnt(5)
	v_mul_f64 v[4:5], v[34:35], v[14:15]
	v_mul_f64 v[6:7], v[34:35], v[12:13]
	s_waitcnt vmcnt(16) lgkmcnt(3)
	v_mul_f64 v[16:17], v[30:31], v[50:51]
	v_mul_f64 v[18:19], v[30:31], v[48:49]
	;; [unrolled: 3-line block ×3, first 2 shown]
	s_waitcnt vmcnt(8)
	v_mul_f64 v[26:27], v[42:43], v[38:39]
	v_mul_f64 v[30:31], v[42:43], v[36:37]
	s_waitcnt vmcnt(4)
	v_mul_f64 v[34:35], v[86:87], v[54:55]
	v_mul_f64 v[42:43], v[86:87], v[52:53]
	s_waitcnt vmcnt(0) lgkmcnt(0)
	v_mul_f64 v[60:61], v[46:47], v[78:79]
	v_mul_f64 v[46:47], v[46:47], v[76:77]
	v_fma_f64 v[12:13], v[32:33], v[12:13], v[4:5]
	v_fma_f64 v[14:15], v[32:33], v[14:15], -v[6:7]
	v_fma_f64 v[16:17], v[28:29], v[48:49], v[16:17]
	v_fma_f64 v[18:19], v[28:29], v[50:51], -v[18:19]
	v_mul_f64 v[6:7], v[20:21], s[0:1]
	v_fma_f64 v[20:21], v[68:69], v[72:73], v[22:23]
	v_fma_f64 v[22:23], v[68:69], v[74:75], -v[24:25]
	v_fma_f64 v[24:25], v[40:41], v[36:37], v[26:27]
	v_fma_f64 v[26:27], v[40:41], v[38:39], -v[30:31]
	;; [unrolled: 2-line block ×4, first 2 shown]
	v_add_co_u32 v36, vcc_lo, v56, s4
	v_add_co_ci_u32_e32 v37, vcc_lo, s6, v57, vcc_lo
	v_mul_f64 v[4:5], v[8:9], s[0:1]
	v_add_co_u32 v38, vcc_lo, v36, s2
	v_add_co_ci_u32_e32 v39, vcc_lo, s9, v37, vcc_lo
	v_mul_f64 v[8:9], v[12:13], s[0:1]
	v_add_co_u32 v40, vcc_lo, v38, s4
	v_mul_f64 v[10:11], v[14:15], s[0:1]
	v_mul_f64 v[12:13], v[16:17], s[0:1]
	;; [unrolled: 1-line block ×3, first 2 shown]
	v_add_co_ci_u32_e32 v41, vcc_lo, s6, v39, vcc_lo
	v_mul_f64 v[16:17], v[20:21], s[0:1]
	v_mul_f64 v[18:19], v[22:23], s[0:1]
	;; [unrolled: 1-line block ×8, first 2 shown]
	v_add_co_u32 v32, vcc_lo, v40, s4
	v_add_co_ci_u32_e32 v33, vcc_lo, s6, v41, vcc_lo
	global_store_dwordx4 v[36:37], v[4:7], off
	v_add_co_u32 v0, vcc_lo, v32, s2
	v_add_co_ci_u32_e32 v1, vcc_lo, s9, v33, vcc_lo
	global_store_dwordx4 v[38:39], v[8:11], off
	v_add_co_u32 v2, vcc_lo, v0, s4
	v_add_co_ci_u32_e32 v3, vcc_lo, s6, v1, vcc_lo
	v_add_co_u32 v4, vcc_lo, v2, s4
	v_add_co_ci_u32_e32 v5, vcc_lo, s6, v3, vcc_lo
	global_store_dwordx4 v[40:41], v[12:15], off
	global_store_dwordx4 v[32:33], v[16:19], off
	;; [unrolled: 1-line block ×5, first 2 shown]
.LBB0_10:
	s_endpgm
	.section	.rodata,"a",@progbits
	.p2align	6, 0x0
	.amdhsa_kernel bluestein_single_fwd_len156_dim1_dp_op_CI_CI
		.amdhsa_group_segment_fixed_size 22464
		.amdhsa_private_segment_fixed_size 304
		.amdhsa_kernarg_size 104
		.amdhsa_user_sgpr_count 6
		.amdhsa_user_sgpr_private_segment_buffer 1
		.amdhsa_user_sgpr_dispatch_ptr 0
		.amdhsa_user_sgpr_queue_ptr 0
		.amdhsa_user_sgpr_kernarg_segment_ptr 1
		.amdhsa_user_sgpr_dispatch_id 0
		.amdhsa_user_sgpr_flat_scratch_init 0
		.amdhsa_user_sgpr_private_segment_size 0
		.amdhsa_wavefront_size32 1
		.amdhsa_uses_dynamic_stack 0
		.amdhsa_system_sgpr_private_segment_wavefront_offset 1
		.amdhsa_system_sgpr_workgroup_id_x 1
		.amdhsa_system_sgpr_workgroup_id_y 0
		.amdhsa_system_sgpr_workgroup_id_z 0
		.amdhsa_system_sgpr_workgroup_info 0
		.amdhsa_system_vgpr_workitem_id 0
		.amdhsa_next_free_vgpr 256
		.amdhsa_next_free_sgpr 52
		.amdhsa_reserve_vcc 1
		.amdhsa_reserve_flat_scratch 0
		.amdhsa_float_round_mode_32 0
		.amdhsa_float_round_mode_16_64 0
		.amdhsa_float_denorm_mode_32 3
		.amdhsa_float_denorm_mode_16_64 3
		.amdhsa_dx10_clamp 1
		.amdhsa_ieee_mode 1
		.amdhsa_fp16_overflow 0
		.amdhsa_workgroup_processor_mode 1
		.amdhsa_memory_ordered 1
		.amdhsa_forward_progress 0
		.amdhsa_shared_vgpr_count 0
		.amdhsa_exception_fp_ieee_invalid_op 0
		.amdhsa_exception_fp_denorm_src 0
		.amdhsa_exception_fp_ieee_div_zero 0
		.amdhsa_exception_fp_ieee_overflow 0
		.amdhsa_exception_fp_ieee_underflow 0
		.amdhsa_exception_fp_ieee_inexact 0
		.amdhsa_exception_int_div_zero 0
	.end_amdhsa_kernel
	.text
.Lfunc_end0:
	.size	bluestein_single_fwd_len156_dim1_dp_op_CI_CI, .Lfunc_end0-bluestein_single_fwd_len156_dim1_dp_op_CI_CI
                                        ; -- End function
	.section	.AMDGPU.csdata,"",@progbits
; Kernel info:
; codeLenInByte = 16988
; NumSgprs: 54
; NumVgprs: 256
; ScratchSize: 304
; MemoryBound: 0
; FloatMode: 240
; IeeeMode: 1
; LDSByteSize: 22464 bytes/workgroup (compile time only)
; SGPRBlocks: 6
; VGPRBlocks: 31
; NumSGPRsForWavesPerEU: 54
; NumVGPRsForWavesPerEU: 256
; Occupancy: 4
; WaveLimiterHint : 1
; COMPUTE_PGM_RSRC2:SCRATCH_EN: 1
; COMPUTE_PGM_RSRC2:USER_SGPR: 6
; COMPUTE_PGM_RSRC2:TRAP_HANDLER: 0
; COMPUTE_PGM_RSRC2:TGID_X_EN: 1
; COMPUTE_PGM_RSRC2:TGID_Y_EN: 0
; COMPUTE_PGM_RSRC2:TGID_Z_EN: 0
; COMPUTE_PGM_RSRC2:TIDIG_COMP_CNT: 0
	.text
	.p2alignl 6, 3214868480
	.fill 48, 4, 3214868480
	.type	__hip_cuid_5219c42a50a24328,@object ; @__hip_cuid_5219c42a50a24328
	.section	.bss,"aw",@nobits
	.globl	__hip_cuid_5219c42a50a24328
__hip_cuid_5219c42a50a24328:
	.byte	0                               ; 0x0
	.size	__hip_cuid_5219c42a50a24328, 1

	.ident	"AMD clang version 19.0.0git (https://github.com/RadeonOpenCompute/llvm-project roc-6.4.0 25133 c7fe45cf4b819c5991fe208aaa96edf142730f1d)"
	.section	".note.GNU-stack","",@progbits
	.addrsig
	.addrsig_sym __hip_cuid_5219c42a50a24328
	.amdgpu_metadata
---
amdhsa.kernels:
  - .args:
      - .actual_access:  read_only
        .address_space:  global
        .offset:         0
        .size:           8
        .value_kind:     global_buffer
      - .actual_access:  read_only
        .address_space:  global
        .offset:         8
        .size:           8
        .value_kind:     global_buffer
      - .actual_access:  read_only
        .address_space:  global
        .offset:         16
        .size:           8
        .value_kind:     global_buffer
      - .actual_access:  read_only
        .address_space:  global
        .offset:         24
        .size:           8
        .value_kind:     global_buffer
      - .actual_access:  read_only
        .address_space:  global
        .offset:         32
        .size:           8
        .value_kind:     global_buffer
      - .offset:         40
        .size:           8
        .value_kind:     by_value
      - .address_space:  global
        .offset:         48
        .size:           8
        .value_kind:     global_buffer
      - .address_space:  global
        .offset:         56
        .size:           8
        .value_kind:     global_buffer
      - .address_space:  global
        .offset:         64
        .size:           8
        .value_kind:     global_buffer
      - .address_space:  global
        .offset:         72
        .size:           8
        .value_kind:     global_buffer
      - .offset:         80
        .size:           4
        .value_kind:     by_value
      - .address_space:  global
        .offset:         88
        .size:           8
        .value_kind:     global_buffer
      - .address_space:  global
        .offset:         96
        .size:           8
        .value_kind:     global_buffer
    .group_segment_fixed_size: 22464
    .kernarg_segment_align: 8
    .kernarg_segment_size: 104
    .language:       OpenCL C
    .language_version:
      - 2
      - 0
    .max_flat_workgroup_size: 117
    .name:           bluestein_single_fwd_len156_dim1_dp_op_CI_CI
    .private_segment_fixed_size: 304
    .sgpr_count:     54
    .sgpr_spill_count: 0
    .symbol:         bluestein_single_fwd_len156_dim1_dp_op_CI_CI.kd
    .uniform_work_group_size: 1
    .uses_dynamic_stack: false
    .vgpr_count:     256
    .vgpr_spill_count: 75
    .wavefront_size: 32
    .workgroup_processor_mode: 1
amdhsa.target:   amdgcn-amd-amdhsa--gfx1030
amdhsa.version:
  - 1
  - 2
...

	.end_amdgpu_metadata
